;; amdgpu-corpus repo=ROCm/rocFFT kind=compiled arch=gfx906 opt=O3
	.text
	.amdgcn_target "amdgcn-amd-amdhsa--gfx906"
	.amdhsa_code_object_version 6
	.protected	fft_rtc_fwd_len1512_factors_2_2_2_3_3_3_7_wgs_63_tpt_63_halfLds_dp_ip_CI_unitstride_sbrr_dirReg ; -- Begin function fft_rtc_fwd_len1512_factors_2_2_2_3_3_3_7_wgs_63_tpt_63_halfLds_dp_ip_CI_unitstride_sbrr_dirReg
	.globl	fft_rtc_fwd_len1512_factors_2_2_2_3_3_3_7_wgs_63_tpt_63_halfLds_dp_ip_CI_unitstride_sbrr_dirReg
	.p2align	8
	.type	fft_rtc_fwd_len1512_factors_2_2_2_3_3_3_7_wgs_63_tpt_63_halfLds_dp_ip_CI_unitstride_sbrr_dirReg,@function
fft_rtc_fwd_len1512_factors_2_2_2_3_3_3_7_wgs_63_tpt_63_halfLds_dp_ip_CI_unitstride_sbrr_dirReg: ; @fft_rtc_fwd_len1512_factors_2_2_2_3_3_3_7_wgs_63_tpt_63_halfLds_dp_ip_CI_unitstride_sbrr_dirReg
; %bb.0:
	s_load_dwordx2 s[2:3], s[4:5], 0x50
	s_load_dwordx4 s[8:11], s[4:5], 0x0
	s_load_dwordx2 s[12:13], s[4:5], 0x18
	v_mul_u32_u24_e32 v1, 0x411, v0
	v_add_u32_sdwa v5, s6, v1 dst_sel:DWORD dst_unused:UNUSED_PAD src0_sel:DWORD src1_sel:WORD_1
	v_mov_b32_e32 v3, 0
	s_waitcnt lgkmcnt(0)
	v_cmp_lt_u64_e64 s[0:1], s[10:11], 2
	v_mov_b32_e32 v1, 0
	v_mov_b32_e32 v6, v3
	s_and_b64 vcc, exec, s[0:1]
	v_mov_b32_e32 v2, 0
	s_cbranch_vccnz .LBB0_8
; %bb.1:
	s_load_dwordx2 s[0:1], s[4:5], 0x10
	s_add_u32 s6, s12, 8
	s_addc_u32 s7, s13, 0
	v_mov_b32_e32 v1, 0
	v_mov_b32_e32 v2, 0
	s_waitcnt lgkmcnt(0)
	s_add_u32 s14, s0, 8
	s_addc_u32 s15, s1, 0
	s_mov_b64 s[16:17], 1
.LBB0_2:                                ; =>This Inner Loop Header: Depth=1
	s_load_dwordx2 s[18:19], s[14:15], 0x0
                                        ; implicit-def: $vgpr7_vgpr8
	s_waitcnt lgkmcnt(0)
	v_or_b32_e32 v4, s19, v6
	v_cmp_ne_u64_e32 vcc, 0, v[3:4]
	s_and_saveexec_b64 s[0:1], vcc
	s_xor_b64 s[20:21], exec, s[0:1]
	s_cbranch_execz .LBB0_4
; %bb.3:                                ;   in Loop: Header=BB0_2 Depth=1
	v_cvt_f32_u32_e32 v4, s18
	v_cvt_f32_u32_e32 v7, s19
	s_sub_u32 s0, 0, s18
	s_subb_u32 s1, 0, s19
	v_mac_f32_e32 v4, 0x4f800000, v7
	v_rcp_f32_e32 v4, v4
	v_mul_f32_e32 v4, 0x5f7ffffc, v4
	v_mul_f32_e32 v7, 0x2f800000, v4
	v_trunc_f32_e32 v7, v7
	v_mac_f32_e32 v4, 0xcf800000, v7
	v_cvt_u32_f32_e32 v7, v7
	v_cvt_u32_f32_e32 v4, v4
	v_mul_lo_u32 v8, s0, v7
	v_mul_hi_u32 v9, s0, v4
	v_mul_lo_u32 v11, s1, v4
	v_mul_lo_u32 v10, s0, v4
	v_add_u32_e32 v8, v9, v8
	v_add_u32_e32 v8, v8, v11
	v_mul_hi_u32 v9, v4, v10
	v_mul_lo_u32 v11, v4, v8
	v_mul_hi_u32 v13, v4, v8
	v_mul_hi_u32 v12, v7, v10
	v_mul_lo_u32 v10, v7, v10
	v_mul_hi_u32 v14, v7, v8
	v_add_co_u32_e32 v9, vcc, v9, v11
	v_addc_co_u32_e32 v11, vcc, 0, v13, vcc
	v_mul_lo_u32 v8, v7, v8
	v_add_co_u32_e32 v9, vcc, v9, v10
	v_addc_co_u32_e32 v9, vcc, v11, v12, vcc
	v_addc_co_u32_e32 v10, vcc, 0, v14, vcc
	v_add_co_u32_e32 v8, vcc, v9, v8
	v_addc_co_u32_e32 v9, vcc, 0, v10, vcc
	v_add_co_u32_e32 v4, vcc, v4, v8
	v_addc_co_u32_e32 v7, vcc, v7, v9, vcc
	v_mul_lo_u32 v8, s0, v7
	v_mul_hi_u32 v9, s0, v4
	v_mul_lo_u32 v10, s1, v4
	v_mul_lo_u32 v11, s0, v4
	v_add_u32_e32 v8, v9, v8
	v_add_u32_e32 v8, v8, v10
	v_mul_lo_u32 v12, v4, v8
	v_mul_hi_u32 v13, v4, v11
	v_mul_hi_u32 v14, v4, v8
	;; [unrolled: 1-line block ×3, first 2 shown]
	v_mul_lo_u32 v11, v7, v11
	v_mul_hi_u32 v9, v7, v8
	v_add_co_u32_e32 v12, vcc, v13, v12
	v_addc_co_u32_e32 v13, vcc, 0, v14, vcc
	v_mul_lo_u32 v8, v7, v8
	v_add_co_u32_e32 v11, vcc, v12, v11
	v_addc_co_u32_e32 v10, vcc, v13, v10, vcc
	v_addc_co_u32_e32 v9, vcc, 0, v9, vcc
	v_add_co_u32_e32 v8, vcc, v10, v8
	v_addc_co_u32_e32 v9, vcc, 0, v9, vcc
	v_add_co_u32_e32 v4, vcc, v4, v8
	v_addc_co_u32_e32 v9, vcc, v7, v9, vcc
	v_mad_u64_u32 v[7:8], s[0:1], v5, v9, 0
	v_mul_hi_u32 v10, v5, v4
	v_add_co_u32_e32 v11, vcc, v10, v7
	v_addc_co_u32_e32 v12, vcc, 0, v8, vcc
	v_mad_u64_u32 v[7:8], s[0:1], v6, v4, 0
	v_mad_u64_u32 v[9:10], s[0:1], v6, v9, 0
	v_add_co_u32_e32 v4, vcc, v11, v7
	v_addc_co_u32_e32 v4, vcc, v12, v8, vcc
	v_addc_co_u32_e32 v7, vcc, 0, v10, vcc
	v_add_co_u32_e32 v4, vcc, v4, v9
	v_addc_co_u32_e32 v9, vcc, 0, v7, vcc
	v_mul_lo_u32 v10, s19, v4
	v_mul_lo_u32 v11, s18, v9
	v_mad_u64_u32 v[7:8], s[0:1], s18, v4, 0
	v_add3_u32 v8, v8, v11, v10
	v_sub_u32_e32 v10, v6, v8
	v_mov_b32_e32 v11, s19
	v_sub_co_u32_e32 v7, vcc, v5, v7
	v_subb_co_u32_e64 v10, s[0:1], v10, v11, vcc
	v_subrev_co_u32_e64 v11, s[0:1], s18, v7
	v_subbrev_co_u32_e64 v10, s[0:1], 0, v10, s[0:1]
	v_cmp_le_u32_e64 s[0:1], s19, v10
	v_cndmask_b32_e64 v12, 0, -1, s[0:1]
	v_cmp_le_u32_e64 s[0:1], s18, v11
	v_cndmask_b32_e64 v11, 0, -1, s[0:1]
	v_cmp_eq_u32_e64 s[0:1], s19, v10
	v_cndmask_b32_e64 v10, v12, v11, s[0:1]
	v_add_co_u32_e64 v11, s[0:1], 2, v4
	v_addc_co_u32_e64 v12, s[0:1], 0, v9, s[0:1]
	v_add_co_u32_e64 v13, s[0:1], 1, v4
	v_addc_co_u32_e64 v14, s[0:1], 0, v9, s[0:1]
	v_subb_co_u32_e32 v8, vcc, v6, v8, vcc
	v_cmp_ne_u32_e64 s[0:1], 0, v10
	v_cmp_le_u32_e32 vcc, s19, v8
	v_cndmask_b32_e64 v10, v14, v12, s[0:1]
	v_cndmask_b32_e64 v12, 0, -1, vcc
	v_cmp_le_u32_e32 vcc, s18, v7
	v_cndmask_b32_e64 v7, 0, -1, vcc
	v_cmp_eq_u32_e32 vcc, s19, v8
	v_cndmask_b32_e32 v7, v12, v7, vcc
	v_cmp_ne_u32_e32 vcc, 0, v7
	v_cndmask_b32_e64 v7, v13, v11, s[0:1]
	v_cndmask_b32_e32 v8, v9, v10, vcc
	v_cndmask_b32_e32 v7, v4, v7, vcc
.LBB0_4:                                ;   in Loop: Header=BB0_2 Depth=1
	s_andn2_saveexec_b64 s[0:1], s[20:21]
	s_cbranch_execz .LBB0_6
; %bb.5:                                ;   in Loop: Header=BB0_2 Depth=1
	v_cvt_f32_u32_e32 v4, s18
	s_sub_i32 s20, 0, s18
	v_rcp_iflag_f32_e32 v4, v4
	v_mul_f32_e32 v4, 0x4f7ffffe, v4
	v_cvt_u32_f32_e32 v4, v4
	v_mul_lo_u32 v7, s20, v4
	v_mul_hi_u32 v7, v4, v7
	v_add_u32_e32 v4, v4, v7
	v_mul_hi_u32 v4, v5, v4
	v_mul_lo_u32 v7, v4, s18
	v_add_u32_e32 v8, 1, v4
	v_sub_u32_e32 v7, v5, v7
	v_subrev_u32_e32 v9, s18, v7
	v_cmp_le_u32_e32 vcc, s18, v7
	v_cndmask_b32_e32 v7, v7, v9, vcc
	v_cndmask_b32_e32 v4, v4, v8, vcc
	v_add_u32_e32 v8, 1, v4
	v_cmp_le_u32_e32 vcc, s18, v7
	v_cndmask_b32_e32 v7, v4, v8, vcc
	v_mov_b32_e32 v8, v3
.LBB0_6:                                ;   in Loop: Header=BB0_2 Depth=1
	s_or_b64 exec, exec, s[0:1]
	v_mul_lo_u32 v4, v8, s18
	v_mul_lo_u32 v11, v7, s19
	v_mad_u64_u32 v[9:10], s[0:1], v7, s18, 0
	s_load_dwordx2 s[0:1], s[6:7], 0x0
	s_add_u32 s16, s16, 1
	v_add3_u32 v4, v10, v11, v4
	v_sub_co_u32_e32 v5, vcc, v5, v9
	v_subb_co_u32_e32 v4, vcc, v6, v4, vcc
	s_waitcnt lgkmcnt(0)
	v_mul_lo_u32 v4, s0, v4
	v_mul_lo_u32 v6, s1, v5
	v_mad_u64_u32 v[1:2], s[0:1], s0, v5, v[1:2]
	s_addc_u32 s17, s17, 0
	s_add_u32 s6, s6, 8
	v_add3_u32 v2, v6, v2, v4
	v_mov_b32_e32 v4, s10
	v_mov_b32_e32 v5, s11
	s_addc_u32 s7, s7, 0
	v_cmp_ge_u64_e32 vcc, s[16:17], v[4:5]
	s_add_u32 s14, s14, 8
	s_addc_u32 s15, s15, 0
	s_cbranch_vccnz .LBB0_9
; %bb.7:                                ;   in Loop: Header=BB0_2 Depth=1
	v_mov_b32_e32 v5, v7
	v_mov_b32_e32 v6, v8
	s_branch .LBB0_2
.LBB0_8:
	v_mov_b32_e32 v8, v6
	v_mov_b32_e32 v7, v5
.LBB0_9:
	s_lshl_b64 s[0:1], s[10:11], 3
	s_add_u32 s0, s12, s0
	s_addc_u32 s1, s13, s1
	s_load_dwordx2 s[6:7], s[0:1], 0x0
	s_load_dwordx2 s[10:11], s[4:5], 0x20
                                        ; implicit-def: $vgpr66_vgpr67
                                        ; implicit-def: $vgpr50_vgpr51
                                        ; implicit-def: $vgpr58_vgpr59
                                        ; implicit-def: $vgpr42_vgpr43
                                        ; implicit-def: $vgpr62_vgpr63
                                        ; implicit-def: $vgpr38_vgpr39
                                        ; implicit-def: $vgpr70_vgpr71
                                        ; implicit-def: $vgpr54_vgpr55
                                        ; implicit-def: $vgpr74_vgpr75
                                        ; implicit-def: $vgpr34_vgpr35
                                        ; implicit-def: $vgpr78_vgpr79
                                        ; implicit-def: $vgpr30_vgpr31
                                        ; implicit-def: $vgpr92_vgpr93
                                        ; implicit-def: $vgpr22_vgpr23
                                        ; implicit-def: $vgpr26_vgpr27
                                        ; implicit-def: $vgpr46_vgpr47
                                        ; implicit-def: $vgpr18_vgpr19
                                        ; implicit-def: $vgpr10_vgpr11
                                        ; implicit-def: $vgpr14_vgpr15
                                        ; implicit-def: $vgpr82_vgpr83
                                        ; implicit-def: $vgpr96_vgpr97
                                        ; implicit-def: $vgpr86_vgpr87
	s_waitcnt lgkmcnt(0)
	v_mad_u64_u32 v[1:2], s[0:1], s6, v7, v[1:2]
	v_mul_lo_u32 v3, s6, v8
	v_mul_lo_u32 v4, s7, v7
	s_mov_b32 s0, 0x4104105
	v_mul_hi_u32 v5, v0, s0
	v_cmp_gt_u64_e32 vcc, s[10:11], v[7:8]
	v_add3_u32 v2, v4, v2, v3
	v_lshlrev_b64 v[116:117], 4, v[1:2]
	v_mul_u32_u24_e32 v3, 63, v5
	v_sub_u32_e32 v114, v0, v3
                                        ; implicit-def: $vgpr6_vgpr7
                                        ; implicit-def: $vgpr2_vgpr3
	s_and_saveexec_b64 s[4:5], vcc
	s_cbranch_execz .LBB0_11
; %bb.10:
	v_mov_b32_e32 v115, 0
	v_mov_b32_e32 v0, s3
	v_add_co_u32_e64 v2, s[0:1], s2, v116
	v_addc_co_u32_e64 v3, s[0:1], v0, v117, s[0:1]
	v_lshlrev_b64 v[0:1], 4, v[114:115]
	v_add_co_u32_e64 v88, s[0:1], v2, v0
	v_addc_co_u32_e64 v89, s[0:1], v3, v1, s[0:1]
	s_movk_i32 s0, 0x2000
	v_add_co_u32_e64 v98, s[0:1], s0, v88
	v_addc_co_u32_e64 v99, s[0:1], 0, v89, s[0:1]
	s_movk_i32 s0, 0x3000
	;; [unrolled: 3-line block ×5, first 2 shown]
	v_add_co_u32_e64 v106, s[0:1], s0, v88
	global_load_dwordx4 v[84:87], v[88:89], off
	global_load_dwordx4 v[0:3], v[88:89], off offset:1008
	global_load_dwordx4 v[4:7], v[88:89], off offset:2016
	;; [unrolled: 1-line block ×9, first 2 shown]
	v_addc_co_u32_e64 v107, s[0:1], 0, v89, s[0:1]
	global_load_dwordx4 v[80:83], v[100:101], off offset:816
	global_load_dwordx4 v[94:97], v[98:99], off offset:3904
	;; [unrolled: 1-line block ×14, first 2 shown]
.LBB0_11:
	s_or_b64 exec, exec, s[4:5]
	s_waitcnt vmcnt(12)
	v_add_f64 v[102:103], v[86:87], -v[96:97]
	v_add_f64 v[88:89], v[0:1], -v[80:81]
	;; [unrolled: 1-line block ×4, first 2 shown]
	s_waitcnt vmcnt(6)
	v_add_f64 v[124:125], v[20:21], -v[90:91]
	s_waitcnt vmcnt(5)
	v_add_f64 v[90:91], v[28:29], -v[76:77]
	v_add_f64 v[110:111], v[8:9], -v[16:17]
	;; [unrolled: 1-line block ×3, first 2 shown]
	v_fma_f64 v[100:101], v[86:87], 2.0, -v[102:103]
	v_fma_f64 v[86:87], v[0:1], 2.0, -v[88:89]
	;; [unrolled: 1-line block ×3, first 2 shown]
	v_add_u32_e32 v76, 63, v114
	v_fma_f64 v[104:105], v[4:5], 2.0, -v[106:107]
	v_lshl_add_u32 v5, v76, 4, 0
	v_fma_f64 v[108:109], v[8:9], 2.0, -v[110:111]
	v_lshl_add_u32 v77, v114, 4, 0
	v_fma_f64 v[118:119], v[44:45], 2.0, -v[120:121]
	ds_write_b128 v5, v[86:89]
	s_waitcnt vmcnt(4)
	v_add_f64 v[86:87], v[32:33], -v[72:73]
	v_fma_f64 v[88:89], v[28:29], 2.0, -v[90:91]
	v_fma_f64 v[122:123], v[20:21], 2.0, -v[124:125]
	ds_write_b128 v77, v[96:99]
	s_waitcnt vmcnt(3)
	v_add_f64 v[96:97], v[52:53], -v[68:69]
	v_add_u32_e32 v69, 0x17a, v114
	v_lshl_add_u32 v29, v69, 4, 0
	v_add_u32_e32 v115, 0x7e, v114
	v_fma_f64 v[84:85], v[32:33], 2.0, -v[86:87]
	ds_write_b128 v29, v[88:91]
	s_waitcnt vmcnt(0)
	v_add_f64 v[88:89], v[48:49], -v[64:65]
	v_lshl_add_u32 v98, v115, 4, 0
	ds_write_b128 v98, v[104:107]
	v_add_u32_e32 v142, 0xbd, v114
	v_add_f64 v[106:107], v[36:37], -v[60:61]
	v_lshl_add_u32 v99, v142, 4, 0
	ds_write_b128 v99, v[108:111]
	v_add_u32_e32 v73, 0xfc, v114
	v_add_u32_e32 v72, 0x13b, v114
	v_add_f64 v[110:111], v[40:41], -v[56:57]
	v_lshl_add_u32 v112, v73, 4, 0
	v_lshl_add_u32 v60, v72, 4, 0
	v_add_f64 v[8:9], v[6:7], -v[14:15]
	ds_write_b128 v112, v[118:121]
	ds_write_b128 v60, v[122:125]
	v_add_u32_e32 v68, 0x1b9, v114
	v_add_f64 v[121:122], v[2:3], -v[82:83]
	v_add_f64 v[12:13], v[10:11], -v[18:19]
	v_lshl_add_u32 v61, v68, 4, 0
	v_add_f64 v[20:21], v[46:47], -v[26:27]
	ds_write_b128 v61, v[84:87]
	v_fma_f64 v[86:87], v[48:49], 2.0, -v[88:89]
	v_add_f64 v[48:49], v[22:23], -v[92:93]
	v_add_f64 v[32:33], v[30:31], -v[78:79]
	v_fma_f64 v[104:105], v[36:37], 2.0, -v[106:107]
	v_add_f64 v[36:37], v[34:35], -v[74:75]
	v_add_f64 v[56:57], v[54:55], -v[70:71]
	v_fma_f64 v[108:109], v[40:41], 2.0, -v[110:111]
	v_add_f64 v[40:41], v[38:39], -v[62:63]
	v_fma_f64 v[94:95], v[52:53], 2.0, -v[96:97]
	v_fma_f64 v[6:7], v[6:7], 2.0, -v[8:9]
	v_add_f64 v[44:45], v[42:43], -v[58:59]
	v_add_f64 v[52:53], v[50:51], -v[66:67]
	v_fma_f64 v[119:120], v[2:3], 2.0, -v[121:122]
	v_fma_f64 v[10:11], v[10:11], 2.0, -v[12:13]
	;; [unrolled: 1-line block ×6, first 2 shown]
	v_add_u32_e32 v4, 0x1f8, v114
	v_add_u32_e32 v28, 0x237, v114
	;; [unrolled: 1-line block ×4, first 2 shown]
	v_lshl_add_u32 v143, v114, 3, 0
	v_fma_f64 v[54:55], v[54:55], 2.0, -v[56:57]
	v_lshl_add_u32 v113, v4, 4, 0
	v_lshl_add_u32 v139, v28, 4, 0
	;; [unrolled: 1-line block ×4, first 2 shown]
	v_add_u32_e32 v145, 0x1800, v143
	v_add_u32_e32 v150, 0x1000, v143
	v_fma_f64 v[38:39], v[38:39], 2.0, -v[40:41]
	v_and_b32_e32 v63, 1, v114
	v_and_b32_e32 v79, 1, v76
	ds_write_b128 v113, v[94:97]
	ds_write_b128 v139, v[104:107]
	;; [unrolled: 1-line block ×4, first 2 shown]
	s_waitcnt lgkmcnt(0)
	; wave barrier
	s_waitcnt lgkmcnt(0)
	v_add_u32_e32 v144, 0x1400, v143
	v_add_u32_e32 v118, 0x400, v143
	v_add_u32_e32 v147, 0x1c00, v143
	v_add_u32_e32 v146, 0x800, v143
	v_add_u32_e32 v148, 0x2000, v143
	v_add_u32_e32 v65, 0xc00, v143
	v_add_u32_e32 v64, 0x2400, v143
	v_add_u32_e32 v149, 0x2800, v143
	ds_read2_b64 v[104:107], v143 offset1:63
	ds_read2_b64 v[108:111], v144 offset0:116 offset1:179
	ds_read2_b64 v[94:97], v143 offset0:126 offset1:189
	;; [unrolled: 1-line block ×11, first 2 shown]
	s_waitcnt lgkmcnt(0)
	; wave barrier
	s_waitcnt lgkmcnt(0)
	ds_write_b128 v77, v[100:103]
	ds_write_b128 v5, v[119:122]
	v_fma_f64 v[42:43], v[42:43], 2.0, -v[44:45]
	v_fma_f64 v[50:51], v[50:51], 2.0, -v[52:53]
	ds_write_b128 v98, v[6:9]
	ds_write_b128 v99, v[10:13]
	;; [unrolled: 1-line block ×10, first 2 shown]
	v_lshlrev_b32_e32 v5, 4, v63
	v_lshlrev_b32_e32 v9, 4, v79
	s_waitcnt lgkmcnt(0)
	; wave barrier
	s_waitcnt lgkmcnt(0)
	global_load_dwordx4 v[5:8], v5, s[8:9]
	v_and_b32_e32 v139, 1, v142
	global_load_dwordx4 v[9:12], v9, s[8:9]
	v_lshlrev_b32_e32 v13, 4, v139
	global_load_dwordx4 v[18:21], v13, s[8:9]
	v_and_b32_e32 v140, 1, v72
	v_lshlrev_b32_e32 v13, 4, v140
	global_load_dwordx4 v[29:32], v13, s[8:9]
	v_and_b32_e32 v141, 1, v68
	;; [unrolled: 3-line block ×4, first 2 shown]
	v_lshlrev_b32_e32 v13, 4, v152
	global_load_dwordx4 v[41:44], v13, s[8:9]
	ds_read2_b64 v[45:48], v144 offset0:116 offset1:179
	ds_read2_b64 v[49:52], v145 offset0:114 offset1:177
	;; [unrolled: 1-line block ×3, first 2 shown]
	s_movk_i32 s0, 0x7c
	s_movk_i32 s1, 0x2fc
	s_mov_b32 s4, 0xe8584caa
	s_mov_b32 s5, 0x3febb67a
	;; [unrolled: 1-line block ×4, first 2 shown]
	s_waitcnt vmcnt(6)
	v_mul_f64 v[57:58], v[108:109], v[7:8]
	s_waitcnt lgkmcnt(2)
	v_mul_f64 v[22:23], v[45:46], v[7:8]
	s_waitcnt vmcnt(5)
	v_mul_f64 v[26:27], v[47:48], v[11:12]
	v_mul_f64 v[11:12], v[110:111], v[11:12]
	s_waitcnt vmcnt(4) lgkmcnt(1)
	v_mul_f64 v[61:62], v[51:52], v[20:21]
	v_mul_f64 v[20:21], v[125:126], v[20:21]
	;; [unrolled: 1-line block ×4, first 2 shown]
	v_fma_f64 v[74:75], v[45:46], v[5:6], v[57:58]
	s_waitcnt lgkmcnt(0)
	v_mul_f64 v[45:46], v[53:54], v[7:8]
	v_fma_f64 v[26:27], v[110:111], v[9:10], -v[26:27]
	v_fma_f64 v[70:71], v[47:48], v[9:10], v[11:12]
	s_waitcnt vmcnt(3)
	v_mul_f64 v[47:48], v[55:56], v[31:32]
	v_fma_f64 v[92:93], v[51:52], v[18:19], v[20:21]
	v_mul_f64 v[51:52], v[131:132], v[7:8]
	ds_read2_b64 v[9:12], v148 offset0:110 offset1:173
	v_mul_f64 v[31:32], v[129:130], v[31:32]
	v_fma_f64 v[22:23], v[108:109], v[5:6], -v[22:23]
	v_fma_f64 v[102:103], v[127:128], v[5:6], -v[45:46]
	v_fma_f64 v[77:78], v[123:124], v[5:6], -v[59:60]
	s_waitcnt lgkmcnt(0)
	v_mul_f64 v[45:46], v[9:10], v[7:8]
	v_fma_f64 v[108:109], v[129:130], v[29:30], -v[47:48]
	s_waitcnt vmcnt(2)
	v_mul_f64 v[47:48], v[11:12], v[35:36]
	v_mul_f64 v[35:36], v[133:134], v[35:36]
	v_fma_f64 v[123:124], v[9:10], v[5:6], v[51:52]
	s_waitcnt vmcnt(1)
	v_mul_f64 v[9:10], v[137:138], v[39:40]
	v_fma_f64 v[61:62], v[125:126], v[18:19], -v[61:62]
	ds_read2_b64 v[18:21], v64 offset0:108 offset1:171
	v_fma_f64 v[110:111], v[55:56], v[29:30], v[31:32]
	ds_read2_b64 v[29:32], v149 offset0:106 offset1:169
	v_fma_f64 v[66:67], v[49:50], v[5:6], v[66:67]
	v_mul_f64 v[49:50], v[127:128], v[7:8]
	v_fma_f64 v[119:120], v[131:132], v[5:6], -v[45:46]
	s_waitcnt lgkmcnt(1)
	v_mul_f64 v[45:46], v[18:19], v[7:8]
	v_fma_f64 v[121:122], v[133:134], v[33:34], -v[47:48]
	v_fma_f64 v[125:126], v[11:12], v[33:34], v[35:36]
	v_mul_f64 v[11:12], v[135:136], v[7:8]
	s_waitcnt lgkmcnt(0)
	v_mul_f64 v[33:34], v[29:30], v[7:8]
	v_mul_f64 v[7:8], v[14:15], v[7:8]
	;; [unrolled: 1-line block ×3, first 2 shown]
	v_fma_f64 v[131:132], v[20:21], v[37:38], v[9:10]
	s_waitcnt vmcnt(0)
	v_mul_f64 v[9:10], v[16:17], v[43:44]
	v_fma_f64 v[127:128], v[135:136], v[5:6], -v[45:46]
	v_mul_f64 v[35:36], v[31:32], v[43:44]
	v_fma_f64 v[133:134], v[18:19], v[5:6], v[11:12]
	v_fma_f64 v[11:12], v[14:15], v[5:6], -v[33:34]
	v_fma_f64 v[135:136], v[29:30], v[5:6], v[7:8]
	v_add_f64 v[7:8], v[104:105], -v[22:23]
	v_fma_f64 v[129:130], v[137:138], v[37:38], -v[47:48]
	v_fma_f64 v[137:138], v[31:32], v[41:42], v[9:10]
	v_add_f64 v[9:10], v[106:107], -v[26:27]
	v_lshlrev_b32_e32 v48, 1, v114
	v_and_or_b32 v15, v48, s0, v63
	v_fma_f64 v[112:113], v[53:54], v[5:6], v[49:50]
	v_fma_f64 v[5:6], v[16:17], v[41:42], -v[35:36]
	v_fma_f64 v[13:14], v[104:105], 2.0, -v[7:8]
	v_lshl_add_u32 v104, v15, 3, 0
	v_add_f64 v[15:16], v[94:95], -v[77:78]
	v_fma_f64 v[17:18], v[106:107], 2.0, -v[9:10]
	s_movk_i32 s0, 0xfc
	v_lshlrev_b32_e32 v35, 1, v76
	ds_read2_b64 v[43:46], v143 offset1:63
	ds_read2_b64 v[49:52], v143 offset0:126 offset1:189
	ds_read2_b64 v[53:56], v118 offset0:124 offset1:187
	;; [unrolled: 1-line block ×5, first 2 shown]
	s_waitcnt lgkmcnt(0)
	; wave barrier
	s_waitcnt lgkmcnt(0)
	ds_write2_b64 v104, v[13:14], v[7:8] offset1:2
	v_add_f64 v[7:8], v[96:97], -v[61:62]
	v_and_or_b32 v13, v35, s0, v79
	v_lshl_add_u32 v105, v13, 3, 0
	v_fma_f64 v[13:14], v[94:95], 2.0, -v[15:16]
	ds_write2_b64 v105, v[17:18], v[9:10] offset1:2
	v_add_f64 v[9:10], v[80:81], -v[102:103]
	v_lshlrev_b32_e32 v36, 1, v115
	s_movk_i32 s0, 0x1fc
	v_fma_f64 v[17:18], v[96:97], 2.0, -v[7:8]
	v_and_or_b32 v19, v36, s0, v63
	v_lshl_add_u32 v97, v19, 3, 0
	ds_write2_b64 v97, v[13:14], v[15:16] offset1:2
	v_lshlrev_b32_e32 v37, 1, v142
	v_fma_f64 v[13:14], v[80:81], 2.0, -v[9:10]
	v_and_or_b32 v15, v37, s0, v139
	v_lshl_add_u32 v106, v15, 3, 0
	v_lshlrev_b32_e32 v34, 1, v73
	s_movk_i32 s0, 0x3fc
	ds_write2_b64 v106, v[17:18], v[7:8] offset1:2
	v_and_or_b32 v7, v34, s0, v63
	v_lshl_add_u32 v107, v7, 3, 0
	ds_write2_b64 v107, v[13:14], v[9:10] offset1:2
	v_add_f64 v[7:8], v[82:83], -v[108:109]
	v_add_f64 v[9:10], v[84:85], -v[119:120]
	;; [unrolled: 1-line block ×4, first 2 shown]
	v_lshlrev_b32_e32 v30, 1, v72
	v_add_f64 v[15:16], v[88:89], -v[127:128]
	v_add_f64 v[17:18], v[90:91], -v[129:130]
	;; [unrolled: 1-line block ×3, first 2 shown]
	v_fma_f64 v[19:20], v[82:83], 2.0, -v[7:8]
	v_fma_f64 v[21:22], v[84:85], 2.0, -v[9:10]
	;; [unrolled: 1-line block ×3, first 2 shown]
	v_lshlrev_b32_e32 v29, 1, v69
	v_lshlrev_b32_e32 v32, 1, v4
	v_add_f64 v[4:5], v[2:3], -v[5:6]
	v_and_or_b32 v6, v30, s1, v140
	v_lshlrev_b32_e32 v33, 1, v68
	v_lshl_add_u32 v108, v6, 3, 0
	v_and_or_b32 v6, v29, s0, v63
	v_lshl_add_u32 v109, v6, 3, 0
	v_and_or_b32 v6, v33, s0, v141
	v_add_f64 v[70:71], v[45:46], -v[70:71]
	v_lshl_add_u32 v119, v6, 3, 0
	v_add_f64 v[66:67], v[49:50], -v[66:67]
	ds_write2_b64 v108, v[19:20], v[7:8] offset1:2
	ds_write2_b64 v109, v[21:22], v[9:10] offset1:2
	;; [unrolled: 1-line block ×3, first 2 shown]
	v_add_f64 v[74:75], v[51:52], -v[92:93]
	v_fma_f64 v[77:78], v[88:89], 2.0, -v[15:16]
	v_fma_f64 v[79:80], v[90:91], 2.0, -v[17:18]
	;; [unrolled: 1-line block ×5, first 2 shown]
	s_movk_i32 s0, 0x7fc
	v_fma_f64 v[46:47], v[45:46], 2.0, -v[70:71]
	v_lshlrev_b32_e32 v31, 1, v28
	v_and_or_b32 v6, v32, s0, v63
	s_movk_i32 s0, 0x4fc
	v_fma_f64 v[49:50], v[49:50], 2.0, -v[66:67]
	v_lshlrev_b32_e32 v27, 1, v24
	v_lshl_add_u32 v120, v6, 3, 0
	v_and_or_b32 v6, v31, s0, v151
	s_movk_i32 s0, 0x5fc
	v_fma_f64 v[51:52], v[51:52], 2.0, -v[74:75]
	v_lshl_add_u32 v121, v6, 3, 0
	v_and_or_b32 v6, v27, s0, v63
	v_lshlrev_b32_e32 v26, 1, v25
	v_lshl_add_u32 v63, v6, 3, 0
	ds_write2_b64 v120, v[77:78], v[15:16] offset1:2
	ds_write2_b64 v121, v[79:80], v[17:18] offset1:2
	;; [unrolled: 1-line block ×3, first 2 shown]
	v_and_or_b32 v0, v26, s0, v152
	v_lshl_add_u32 v122, v0, 3, 0
	ds_write2_b64 v122, v[2:3], v[4:5] offset1:2
	s_waitcnt lgkmcnt(0)
	; wave barrier
	s_waitcnt lgkmcnt(0)
	ds_read2_b64 v[20:23], v143 offset1:63
	ds_read2_b64 v[77:80], v144 offset0:116 offset1:179
	ds_read2_b64 v[4:7], v143 offset0:126 offset1:189
	;; [unrolled: 1-line block ×11, first 2 shown]
	s_waitcnt lgkmcnt(0)
	; wave barrier
	s_waitcnt lgkmcnt(0)
	ds_write2_b64 v104, v[102:103], v[61:62] offset1:2
	ds_write2_b64 v105, v[46:47], v[70:71] offset1:2
	;; [unrolled: 1-line block ×4, first 2 shown]
	v_add_f64 v[46:47], v[53:54], -v[112:113]
	v_add_f64 v[49:50], v[55:56], -v[110:111]
	;; [unrolled: 1-line block ×8, first 2 shown]
	v_fma_f64 v[53:54], v[53:54], 2.0, -v[46:47]
	v_fma_f64 v[55:56], v[55:56], 2.0, -v[49:50]
	;; [unrolled: 1-line block ×8, first 2 shown]
	ds_write2_b64 v107, v[53:54], v[46:47] offset1:2
	ds_write2_b64 v108, v[55:56], v[49:50] offset1:2
	ds_write2_b64 v109, v[38:39], v[51:52] offset1:2
	ds_write2_b64 v119, v[40:41], v[61:62] offset1:2
	ds_write2_b64 v120, v[57:58], v[66:67] offset1:2
	ds_write2_b64 v121, v[59:60], v[70:71] offset1:2
	ds_write2_b64 v63, v[97:98], v[74:75] offset1:2
	ds_write2_b64 v122, v[99:100], v[102:103] offset1:2
	v_and_b32_e32 v63, 3, v115
	v_lshlrev_b32_e32 v38, 4, v63
	s_waitcnt lgkmcnt(0)
	; wave barrier
	s_waitcnt lgkmcnt(0)
	global_load_dwordx4 v[38:41], v38, s[8:9] offset:32
	v_and_b32_e32 v140, 3, v24
	v_and_b32_e32 v113, 3, v142
	v_lshlrev_b32_e32 v24, 4, v140
	global_load_dwordx4 v[119:122], v24, s[8:9] offset:32
	v_and_b32_e32 v141, 3, v25
	v_lshlrev_b32_e32 v46, 4, v113
	v_and_b32_e32 v135, 3, v69
	v_lshlrev_b32_e32 v24, 4, v141
	global_load_dwordx4 v[49:52], v46, s[8:9] offset:32
	global_load_dwordx4 v[123:126], v24, s[8:9] offset:32
	v_lshlrev_b32_e32 v46, 4, v135
	global_load_dwordx4 v[53:56], v46, s[8:9] offset:32
	v_and_b32_e32 v136, 3, v68
	v_lshlrev_b32_e32 v46, 4, v136
	v_and_b32_e32 v137, 3, v114
	global_load_dwordx4 v[57:60], v46, s[8:9] offset:32
	v_lshlrev_b32_e32 v46, 4, v137
	global_load_dwordx4 v[97:100], v46, s[8:9] offset:32
	v_and_b32_e32 v138, 3, v76
	v_lshlrev_b32_e32 v46, 4, v138
	v_and_b32_e32 v139, 3, v72
	global_load_dwordx4 v[101:104], v46, s[8:9] offset:32
	v_lshlrev_b32_e32 v46, 4, v139
	global_load_dwordx4 v[105:108], v46, s[8:9] offset:32
	v_and_b32_e32 v28, 3, v28
	v_lshlrev_b32_e32 v46, 4, v28
	global_load_dwordx4 v[109:112], v46, s[8:9] offset:32
	ds_read2_b64 v[127:130], v145 offset0:114 offset1:177
	ds_read2_b64 v[131:134], v148 offset0:110 offset1:173
	s_movk_i32 s0, 0x78
	s_movk_i32 s1, 0x2f8
	s_waitcnt vmcnt(9) lgkmcnt(1)
	v_mul_f64 v[24:25], v[127:128], v[40:41]
	v_mul_f64 v[40:41], v[81:82], v[40:41]
	v_fma_f64 v[24:25], v[81:82], v[38:39], -v[24:25]
	s_waitcnt vmcnt(7)
	v_mul_f64 v[46:47], v[129:130], v[51:52]
	v_mul_f64 v[51:52], v[83:84], v[51:52]
	v_fma_f64 v[66:67], v[127:128], v[38:39], v[40:41]
	s_waitcnt vmcnt(5) lgkmcnt(0)
	v_mul_f64 v[61:62], v[131:132], v[55:56]
	v_mul_f64 v[55:56], v[89:90], v[55:56]
	ds_read2_b64 v[38:41], v144 offset0:116 offset1:179
	s_waitcnt vmcnt(4)
	v_mul_f64 v[70:71], v[133:134], v[59:60]
	v_mul_f64 v[59:60], v[91:92], v[59:60]
	v_fma_f64 v[46:47], v[83:84], v[49:50], -v[46:47]
	v_fma_f64 v[74:75], v[129:130], v[49:50], v[51:52]
	v_fma_f64 v[61:62], v[89:90], v[53:54], -v[61:62]
	v_fma_f64 v[127:128], v[131:132], v[53:54], v[55:56]
	s_waitcnt vmcnt(3) lgkmcnt(0)
	v_mul_f64 v[53:54], v[38:39], v[99:100]
	ds_read2_b64 v[49:52], v147 offset0:112 offset1:175
	v_fma_f64 v[70:71], v[91:92], v[57:58], -v[70:71]
	v_fma_f64 v[129:130], v[133:134], v[57:58], v[59:60]
	s_waitcnt vmcnt(2)
	v_mul_f64 v[55:56], v[40:41], v[103:104]
	v_mul_f64 v[57:58], v[79:80], v[103:104]
	;; [unrolled: 1-line block ×3, first 2 shown]
	s_waitcnt lgkmcnt(0)
	v_mul_f64 v[81:82], v[49:50], v[99:100]
	v_fma_f64 v[53:54], v[77:78], v[97:98], -v[53:54]
	s_waitcnt vmcnt(1)
	v_mul_f64 v[77:78], v[51:52], v[107:108]
	v_mul_f64 v[83:84], v[87:88], v[107:108]
	v_mul_f64 v[89:90], v[85:86], v[99:100]
	v_fma_f64 v[91:92], v[79:80], v[101:102], -v[55:56]
	v_fma_f64 v[101:102], v[40:41], v[101:102], v[57:58]
	v_fma_f64 v[103:104], v[38:39], v[97:98], v[59:60]
	v_fma_f64 v[81:82], v[85:86], v[97:98], -v[81:82]
	ds_read2_b64 v[38:41], v64 offset0:108 offset1:171
	v_fma_f64 v[85:86], v[87:88], v[105:106], -v[77:78]
	v_fma_f64 v[105:106], v[51:52], v[105:106], v[83:84]
	v_fma_f64 v[107:108], v[49:50], v[97:98], v[89:90]
	ds_read2_b64 v[49:52], v149 offset0:106 offset1:169
	s_waitcnt lgkmcnt(1)
	v_mul_f64 v[55:56], v[38:39], v[99:100]
	v_mul_f64 v[57:58], v[93:94], v[99:100]
	;; [unrolled: 1-line block ×4, first 2 shown]
	s_waitcnt lgkmcnt(0)
	v_mul_f64 v[79:80], v[49:50], v[121:122]
	v_mul_f64 v[87:88], v[51:52], v[125:126]
	s_waitcnt vmcnt(0)
	v_mul_f64 v[59:60], v[40:41], v[111:112]
	v_mul_f64 v[77:78], v[95:96], v[111:112]
	v_fma_f64 v[93:94], v[93:94], v[97:98], -v[55:56]
	v_fma_f64 v[111:112], v[38:39], v[97:98], v[57:58]
	v_add_f64 v[24:25], v[4:5], -v[24:25]
	v_fma_f64 v[121:122], v[51:52], v[123:124], v[89:90]
	v_fma_f64 v[97:98], v[42:43], v[119:120], -v[79:80]
	v_fma_f64 v[119:120], v[49:50], v[119:120], v[83:84]
	v_fma_f64 v[83:84], v[44:45], v[123:124], -v[87:88]
	v_add_f64 v[87:88], v[20:21], -v[53:54]
	v_add_f64 v[89:90], v[22:23], -v[91:92]
	v_and_or_b32 v91, v48, s0, v137
	v_fma_f64 v[4:5], v[4:5], 2.0, -v[24:25]
	v_lshl_add_u32 v123, v91, 3, 0
	s_movk_i32 s0, 0xf8
	v_fma_f64 v[95:96], v[95:96], v[109:110], -v[59:60]
	v_fma_f64 v[109:110], v[40:41], v[109:110], v[77:78]
	v_fma_f64 v[20:21], v[20:21], 2.0, -v[87:88]
	v_fma_f64 v[22:23], v[22:23], 2.0, -v[89:90]
	ds_read2_b64 v[38:41], v143 offset1:63
	ds_read2_b64 v[42:45], v143 offset0:126 offset1:189
	ds_read2_b64 v[49:52], v118 offset0:124 offset1:187
	;; [unrolled: 1-line block ×5, first 2 shown]
	s_waitcnt lgkmcnt(0)
	; wave barrier
	s_waitcnt lgkmcnt(0)
	v_add_f64 v[46:47], v[6:7], -v[46:47]
	ds_write2_b64 v123, v[20:21], v[87:88] offset1:4
	v_and_or_b32 v20, v35, s0, v138
	s_movk_i32 s0, 0x1f8
	v_lshl_add_u32 v124, v20, 3, 0
	v_and_or_b32 v20, v36, s0, v63
	v_lshl_add_u32 v63, v20, 3, 0
	ds_write2_b64 v124, v[22:23], v[89:90] offset1:4
	ds_write2_b64 v63, v[4:5], v[24:25] offset1:4
	v_and_or_b32 v4, v37, s0, v113
	v_lshl_add_u32 v113, v4, 3, 0
	v_add_f64 v[4:5], v[0:1], -v[81:82]
	v_fma_f64 v[6:7], v[6:7], 2.0, -v[46:47]
	s_movk_i32 s0, 0x3f8
	v_and_or_b32 v34, v34, s0, v137
	v_add_f64 v[24:25], v[38:39], -v[103:104]
	v_lshl_add_u32 v103, v34, 3, 0
	v_add_f64 v[20:21], v[8:9], -v[61:62]
	v_add_f64 v[22:23], v[10:11], -v[70:71]
	v_fma_f64 v[0:1], v[0:1], 2.0, -v[4:5]
	ds_write2_b64 v113, v[6:7], v[46:47] offset1:4
	v_add_f64 v[6:7], v[2:3], -v[85:86]
	v_add_f64 v[35:36], v[12:13], -v[93:94]
	;; [unrolled: 1-line block ×5, first 2 shown]
	v_fma_f64 v[8:9], v[8:9], 2.0, -v[20:21]
	ds_write2_b64 v103, v[0:1], v[4:5] offset1:4
	v_and_or_b32 v0, v30, s1, v139
	v_lshl_add_u32 v104, v0, 3, 0
	v_and_or_b32 v0, v29, s0, v135
	v_lshl_add_u32 v125, v0, 3, 0
	v_and_or_b32 v0, v33, s0, v136
	s_movk_i32 s0, 0x7f8
	v_lshl_add_u32 v126, v0, 3, 0
	v_and_or_b32 v0, v32, s0, v137
	s_movk_i32 s0, 0x4f8
	;; [unrolled: 3-line block ×3, first 2 shown]
	v_lshl_add_u32 v132, v0, 3, 0
	v_and_or_b32 v0, v27, s0, v140
	v_lshl_add_u32 v133, v0, 3, 0
	v_and_or_b32 v0, v26, s0, v141
	v_add_f64 v[26:27], v[40:41], -v[101:102]
	v_fma_f64 v[2:3], v[2:3], 2.0, -v[6:7]
	v_fma_f64 v[10:11], v[10:11], 2.0, -v[22:23]
	;; [unrolled: 1-line block ×8, first 2 shown]
	ds_write2_b64 v104, v[2:3], v[6:7] offset1:4
	ds_write2_b64 v125, v[8:9], v[20:21] offset1:4
	;; [unrolled: 1-line block ×4, first 2 shown]
	v_add_f64 v[36:37], v[42:43], -v[66:67]
	v_add_f64 v[38:39], v[44:45], -v[74:75]
	v_lshl_add_u32 v134, v0, 3, 0
	ds_write2_b64 v132, v[14:15], v[46:47] offset1:4
	ds_write2_b64 v133, v[16:17], v[61:62] offset1:4
	;; [unrolled: 1-line block ×3, first 2 shown]
	s_waitcnt lgkmcnt(0)
	; wave barrier
	s_waitcnt lgkmcnt(0)
	ds_read2_b64 v[12:15], v143 offset1:63
	ds_read2_b64 v[32:35], v65 offset0:120 offset1:183
	ds_read2_b64 v[81:84], v147 offset0:112 offset1:175
	;; [unrolled: 1-line block ×11, first 2 shown]
	s_waitcnt lgkmcnt(0)
	; wave barrier
	s_waitcnt lgkmcnt(0)
	ds_write2_b64 v123, v[28:29], v[24:25] offset1:4
	ds_write2_b64 v124, v[30:31], v[26:27] offset1:4
	v_add_f64 v[28:29], v[49:50], -v[107:108]
	v_add_f64 v[30:31], v[51:52], -v[105:106]
	v_add_f64 v[40:41], v[53:54], -v[127:128]
	v_fma_f64 v[24:25], v[42:43], 2.0, -v[36:37]
	v_add_f64 v[42:43], v[55:56], -v[129:130]
	v_fma_f64 v[26:27], v[44:45], 2.0, -v[38:39]
	v_add_f64 v[44:45], v[57:58], -v[111:112]
	v_add_f64 v[46:47], v[59:60], -v[109:110]
	;; [unrolled: 1-line block ×4, first 2 shown]
	v_fma_f64 v[49:50], v[49:50], 2.0, -v[28:29]
	v_fma_f64 v[51:52], v[51:52], 2.0, -v[30:31]
	;; [unrolled: 1-line block ×8, first 2 shown]
	ds_write2_b64 v63, v[24:25], v[36:37] offset1:4
	ds_write2_b64 v113, v[26:27], v[38:39] offset1:4
	;; [unrolled: 1-line block ×10, first 2 shown]
	v_and_b32_e32 v28, 7, v114
	v_lshlrev_b32_e32 v24, 5, v28
	s_waitcnt lgkmcnt(0)
	; wave barrier
	s_waitcnt lgkmcnt(0)
	global_load_dwordx4 v[36:39], v24, s[8:9] offset:96
	v_and_b32_e32 v25, 7, v76
	v_lshlrev_b32_e32 v26, 5, v25
	global_load_dwordx4 v[40:43], v26, s[8:9] offset:96
	global_load_dwordx4 v[44:47], v24, s[8:9] offset:112
	global_load_dwordx4 v[49:52], v26, s[8:9] offset:112
	v_and_b32_e32 v26, 7, v115
	v_lshlrev_b32_e32 v24, 5, v26
	global_load_dwordx4 v[57:60], v24, s[8:9] offset:96
	global_load_dwordx4 v[77:80], v24, s[8:9] offset:112
	v_and_b32_e32 v24, 7, v142
	v_lshlrev_b32_e32 v27, 5, v24
	global_load_dwordx4 v[101:104], v27, s[8:9] offset:96
	global_load_dwordx4 v[105:108], v27, s[8:9] offset:112
	v_and_b32_e32 v31, 7, v73
	v_lshlrev_b32_e32 v27, 5, v31
	global_load_dwordx4 v[109:112], v27, s[8:9] offset:96
	v_and_b32_e32 v29, 7, v72
	v_lshlrev_b32_e32 v30, 5, v29
	global_load_dwordx4 v[119:122], v30, s[8:9] offset:96
	global_load_dwordx4 v[123:126], v27, s[8:9] offset:112
	;; [unrolled: 1-line block ×3, first 2 shown]
	v_and_b32_e32 v27, 7, v69
	v_lshlrev_b32_e32 v53, 5, v27
	global_load_dwordx4 v[131:134], v53, s[8:9] offset:96
	v_and_b32_e32 v30, 7, v68
	v_lshlrev_b32_e32 v54, 5, v30
	global_load_dwordx4 v[135:138], v54, s[8:9] offset:96
	global_load_dwordx4 v[151:154], v53, s[8:9] offset:112
	;; [unrolled: 1-line block ×3, first 2 shown]
	ds_read2_b64 v[53:56], v65 offset0:120 offset1:183
	ds_read2_b64 v[159:162], v147 offset0:112 offset1:175
	s_movk_i32 s0, 0xab
	s_waitcnt vmcnt(15) lgkmcnt(1)
	v_mul_f64 v[61:62], v[53:54], v[38:39]
	v_mul_f64 v[38:39], v[32:33], v[38:39]
	s_waitcnt vmcnt(14)
	v_mul_f64 v[66:67], v[55:56], v[42:43]
	v_fma_f64 v[70:71], v[32:33], v[36:37], -v[61:62]
	v_mul_f64 v[32:33], v[34:35], v[42:43]
	v_fma_f64 v[74:75], v[53:54], v[36:37], v[38:39]
	ds_read2_b64 v[36:39], v150 offset0:118 offset1:181
	s_waitcnt vmcnt(13) lgkmcnt(1)
	v_mul_f64 v[42:43], v[159:160], v[46:47]
	v_mul_f64 v[46:47], v[81:82], v[46:47]
	s_waitcnt vmcnt(12)
	v_mul_f64 v[53:54], v[161:162], v[51:52]
	v_mul_f64 v[61:62], v[83:84], v[51:52]
	v_fma_f64 v[51:52], v[34:35], v[40:41], -v[66:67]
	v_fma_f64 v[66:67], v[55:56], v[40:41], v[32:33]
	s_waitcnt vmcnt(11) lgkmcnt(0)
	v_mul_f64 v[40:41], v[36:37], v[59:60]
	ds_read2_b64 v[32:35], v148 offset0:110 offset1:173
	v_fma_f64 v[81:82], v[81:82], v[44:45], -v[42:43]
	v_fma_f64 v[44:45], v[159:160], v[44:45], v[46:47]
	v_fma_f64 v[55:56], v[83:84], v[49:50], -v[53:54]
	v_fma_f64 v[49:50], v[161:162], v[49:50], v[61:62]
	v_mul_f64 v[46:47], v[85:86], v[59:60]
	s_waitcnt vmcnt(10)
	v_mul_f64 v[61:62], v[89:90], v[79:80]
	s_waitcnt lgkmcnt(0)
	v_mul_f64 v[59:60], v[32:33], v[79:80]
	v_fma_f64 v[53:54], v[85:86], v[57:58], -v[40:41]
	s_waitcnt vmcnt(9)
	v_mul_f64 v[83:84], v[87:88], v[103:104]
	ds_read2_b64 v[40:43], v144 offset0:116 offset1:179
	v_mul_f64 v[79:80], v[38:39], v[103:104]
	s_waitcnt vmcnt(8)
	v_mul_f64 v[85:86], v[34:35], v[107:108]
	v_fma_f64 v[46:47], v[36:37], v[57:58], v[46:47]
	v_fma_f64 v[57:58], v[32:33], v[77:78], v[61:62]
	s_waitcnt vmcnt(7) lgkmcnt(0)
	v_mul_f64 v[32:33], v[40:41], v[111:112]
	v_fma_f64 v[89:90], v[89:90], v[77:78], -v[59:60]
	v_fma_f64 v[77:78], v[38:39], v[101:102], v[83:84]
	ds_read2_b64 v[36:39], v64 offset0:108 offset1:171
	v_fma_f64 v[61:62], v[87:88], v[101:102], -v[79:80]
	v_fma_f64 v[79:80], v[91:92], v[105:106], -v[85:86]
	v_mul_f64 v[83:84], v[93:94], v[111:112]
	s_waitcnt vmcnt(6)
	v_mul_f64 v[85:86], v[42:43], v[121:122]
	v_fma_f64 v[87:88], v[93:94], v[109:110], -v[32:33]
	s_waitcnt vmcnt(5) lgkmcnt(0)
	v_mul_f64 v[93:94], v[36:37], v[125:126]
	v_mul_f64 v[101:102], v[97:98], v[125:126]
	;; [unrolled: 1-line block ×4, first 2 shown]
	s_waitcnt vmcnt(0)
	v_mul_f64 v[107:108], v[18:19], v[157:158]
	v_fma_f64 v[83:84], v[40:41], v[109:110], v[83:84]
	v_fma_f64 v[85:86], v[95:96], v[119:120], -v[85:86]
	v_mul_f64 v[95:96], v[99:100], v[129:130]
	v_fma_f64 v[93:94], v[97:98], v[123:124], -v[93:94]
	v_fma_f64 v[97:98], v[36:37], v[123:124], v[101:102]
	v_mul_f64 v[36:37], v[20:21], v[133:134]
	v_fma_f64 v[59:60], v[34:35], v[105:106], v[59:60]
	ds_read2_b64 v[32:35], v145 offset0:114 offset1:177
	v_mul_f64 v[40:41], v[38:39], v[129:130]
	v_add_f64 v[109:110], v[70:71], v[81:82]
	v_fma_f64 v[95:96], v[38:39], v[127:128], v[95:96]
	v_mul_f64 v[38:39], v[22:23], v[137:138]
	s_waitcnt lgkmcnt(0)
	v_mul_f64 v[103:104], v[32:33], v[133:134]
	v_fma_f64 v[105:106], v[32:33], v[131:132], v[36:37]
	v_mul_f64 v[32:33], v[16:17], v[153:154]
	v_fma_f64 v[91:92], v[42:43], v[119:120], v[91:92]
	v_fma_f64 v[99:100], v[99:100], v[127:128], -v[40:41]
	ds_read2_b64 v[40:43], v149 offset0:106 offset1:169
	v_add_f64 v[125:126], v[51:52], v[55:56]
	v_fma_f64 v[119:120], v[34:35], v[135:136], v[38:39]
	v_fma_f64 v[101:102], v[20:21], v[131:132], -v[103:104]
	v_mul_f64 v[20:21], v[34:35], v[137:138]
	s_waitcnt lgkmcnt(0)
	v_mul_f64 v[103:104], v[40:41], v[153:154]
	v_add_f64 v[34:35], v[12:13], v[70:71]
	v_fma_f64 v[121:122], v[40:41], v[151:152], v[32:33]
	v_fma_f64 v[12:13], v[109:110], -0.5, v[12:13]
	v_add_f64 v[40:41], v[74:75], -v[44:45]
	v_mul_f64 v[36:37], v[42:43], v[157:158]
	v_fma_f64 v[107:108], v[42:43], v[155:156], v[107:108]
	v_lshrrev_b32_e32 v32, 3, v114
	v_mul_u32_u24_e32 v32, 24, v32
	v_add_f64 v[42:43], v[34:35], v[81:82]
	v_or_b32_e32 v28, v32, v28
	v_lshl_add_u32 v63, v28, 3, 0
	v_fma_f64 v[109:110], v[40:41], s[4:5], v[12:13]
	v_fma_f64 v[111:112], v[22:23], v[135:136], -v[20:21]
	v_fma_f64 v[103:104], v[16:17], v[151:152], -v[103:104]
	;; [unrolled: 1-line block ×3, first 2 shown]
	ds_read2_b64 v[16:19], v143 offset1:63
	ds_read2_b64 v[20:23], v143 offset0:126 offset1:189
	ds_read2_b64 v[32:35], v118 offset0:124 offset1:187
	;; [unrolled: 1-line block ×3, first 2 shown]
	s_waitcnt lgkmcnt(0)
	; wave barrier
	s_waitcnt lgkmcnt(0)
	ds_write2_b64 v63, v[42:43], v[109:110] offset1:8
	v_add_f64 v[42:43], v[74:75], v[44:45]
	v_add_f64 v[109:110], v[66:67], v[49:50]
	v_fma_f64 v[12:13], v[40:41], s[6:7], v[12:13]
	v_fma_f64 v[40:41], v[125:126], -0.5, v[14:15]
	v_add_f64 v[14:15], v[14:15], v[51:52]
	v_add_f64 v[125:126], v[66:67], -v[49:50]
	v_add_f64 v[127:128], v[53:54], v[89:90]
	v_add_f64 v[74:75], v[16:17], v[74:75]
	v_fma_f64 v[129:130], v[42:43], -0.5, v[16:17]
	v_fma_f64 v[109:110], v[109:110], -0.5, v[18:19]
	v_add_f64 v[66:67], v[18:19], v[66:67]
	ds_write_b64 v63, v[12:13] offset:128
	v_add_f64 v[12:13], v[14:15], v[55:56]
	v_fma_f64 v[14:15], v[125:126], s[4:5], v[40:41]
	v_add_f64 v[16:17], v[8:9], v[53:54]
	v_fma_f64 v[8:9], v[127:128], -0.5, v[8:9]
	v_add_f64 v[18:19], v[46:47], -v[57:58]
	v_lshrrev_b32_e32 v28, 3, v76
	v_mul_u32_u24_e32 v28, 24, v28
	v_or_b32_e32 v25, v28, v25
	v_lshl_add_u32 v113, v25, 3, 0
	v_fma_f64 v[40:41], v[125:126], s[6:7], v[40:41]
	ds_write2_b64 v113, v[12:13], v[14:15] offset1:8
	v_add_f64 v[12:13], v[16:17], v[89:90]
	v_fma_f64 v[14:15], v[18:19], s[4:5], v[8:9]
	v_add_f64 v[16:17], v[61:62], v[79:80]
	v_lshrrev_b32_e32 v151, 3, v115
	v_mul_u32_u24_e32 v25, 24, v151
	v_or_b32_e32 v25, v25, v26
	v_lshl_add_u32 v141, v25, 3, 0
	ds_write_b64 v113, v[40:41] offset:128
	v_fma_f64 v[8:9], v[18:19], s[6:7], v[8:9]
	ds_write2_b64 v141, v[12:13], v[14:15] offset1:8
	v_add_f64 v[12:13], v[77:78], v[59:60]
	v_fma_f64 v[14:15], v[16:17], -0.5, v[10:11]
	v_add_f64 v[10:11], v[10:11], v[61:62]
	v_add_f64 v[16:17], v[77:78], -v[59:60]
	v_add_f64 v[18:19], v[87:88], v[93:94]
	v_add_f64 v[70:71], v[70:71], -v[81:82]
	ds_write_b64 v141, v[8:9] offset:128
	v_add_f64 v[25:26], v[46:47], v[57:58]
	v_fma_f64 v[131:132], v[12:13], -0.5, v[22:23]
	v_add_f64 v[77:78], v[22:23], v[77:78]
	v_add_f64 v[8:9], v[10:11], v[79:80]
	v_fma_f64 v[10:11], v[16:17], s[4:5], v[14:15]
	v_fma_f64 v[12:13], v[16:17], s[6:7], v[14:15]
	v_add_f64 v[14:15], v[4:5], v[87:88]
	v_fma_f64 v[4:5], v[18:19], -0.5, v[4:5]
	v_add_f64 v[16:17], v[83:84], -v[97:98]
	v_lshrrev_b32_e32 v18, 3, v142
	v_mul_u32_u24_e32 v18, 24, v18
	v_or_b32_e32 v18, v18, v24
	v_lshl_add_u32 v152, v18, 3, 0
	ds_write2_b64 v152, v[8:9], v[10:11] offset1:8
	ds_write_b64 v152, v[12:13] offset:128
	v_add_f64 v[8:9], v[14:15], v[93:94]
	v_add_f64 v[12:13], v[85:86], v[99:100]
	v_fma_f64 v[10:11], v[16:17], s[4:5], v[4:5]
	v_lshrrev_b32_e32 v14, 3, v73
	v_mul_u32_u24_e32 v14, 24, v14
	v_or_b32_e32 v14, v14, v31
	v_lshl_add_u32 v153, v14, 3, 0
	v_add_f64 v[14:15], v[83:84], v[97:98]
	v_fma_f64 v[4:5], v[16:17], s[6:7], v[4:5]
	v_add_f64 v[18:19], v[91:92], v[95:96]
	ds_write2_b64 v153, v[8:9], v[10:11] offset1:8
	v_fma_f64 v[8:9], v[12:13], -0.5, v[6:7]
	v_add_f64 v[6:7], v[6:7], v[85:86]
	v_add_f64 v[10:11], v[91:92], -v[95:96]
	v_add_f64 v[83:84], v[32:33], v[83:84]
	v_fma_f64 v[133:134], v[14:15], -0.5, v[32:33]
	ds_write_b64 v153, v[4:5] offset:128
	v_add_f64 v[4:5], v[111:112], v[123:124]
	v_lshrrev_b32_e32 v14, 3, v72
	v_mul_u32_u24_e32 v14, 24, v14
	v_add_f64 v[6:7], v[6:7], v[99:100]
	v_fma_f64 v[12:13], v[10:11], s[4:5], v[8:9]
	v_fma_f64 v[8:9], v[10:11], s[6:7], v[8:9]
	v_add_f64 v[10:11], v[101:102], v[103:104]
	v_or_b32_e32 v14, v14, v29
	v_lshl_add_u32 v154, v14, 3, 0
	v_add_f64 v[14:15], v[105:106], v[121:122]
	v_fma_f64 v[4:5], v[4:5], -0.5, v[2:3]
	v_add_f64 v[2:3], v[2:3], v[111:112]
	ds_write2_b64 v154, v[6:7], v[12:13] offset1:8
	v_add_f64 v[6:7], v[0:1], v[101:102]
	v_fma_f64 v[0:1], v[10:11], -0.5, v[0:1]
	v_add_f64 v[10:11], v[105:106], -v[121:122]
	v_add_f64 v[12:13], v[119:120], -v[107:108]
	v_fma_f64 v[137:138], v[14:15], -0.5, v[36:37]
	v_add_f64 v[74:75], v[74:75], v[44:45]
	v_add_f64 v[16:17], v[119:120], v[107:108]
	;; [unrolled: 1-line block ×4, first 2 shown]
	ds_write_b64 v154, v[8:9] offset:128
	v_fma_f64 v[14:15], v[10:11], s[4:5], v[0:1]
	v_fma_f64 v[0:1], v[10:11], s[6:7], v[0:1]
	;; [unrolled: 1-line block ×3, first 2 shown]
	v_lshrrev_b32_e32 v8, 3, v69
	v_fma_f64 v[81:82], v[70:71], s[6:7], v[129:130]
	v_fma_f64 v[4:5], v[12:13], s[6:7], v[4:5]
	v_mul_u32_u24_e32 v8, 24, v8
	v_add_f64 v[51:52], v[51:52], -v[55:56]
	v_or_b32_e32 v8, v8, v27
	v_add_f64 v[125:126], v[20:21], v[46:47]
	v_fma_f64 v[127:128], v[25:26], -0.5, v[20:21]
	v_lshl_add_u32 v155, v8, 3, 0
	v_add_f64 v[53:54], v[53:54], -v[89:90]
	ds_write2_b64 v155, v[6:7], v[14:15] offset1:8
	ds_write_b64 v155, v[0:1] offset:128
	v_lshrrev_b32_e32 v0, 3, v68
	v_mul_u32_u24_e32 v0, 24, v0
	v_add_f64 v[61:62], v[61:62], -v[79:80]
	v_or_b32_e32 v0, v0, v30
	v_lshl_add_u32 v156, v0, 3, 0
	v_fma_f64 v[55:56], v[70:71], s[4:5], v[129:130]
	v_add_f64 v[70:71], v[87:88], -v[93:94]
	v_fma_f64 v[135:136], v[18:19], -0.5, v[34:35]
	v_add_f64 v[91:92], v[34:35], v[91:92]
	v_fma_f64 v[139:140], v[16:17], -0.5, v[38:39]
	v_add_f64 v[105:106], v[36:37], v[105:106]
	v_add_f64 v[119:120], v[38:39], v[119:120]
	ds_write2_b64 v156, v[2:3], v[10:11] offset1:8
	ds_write_b64 v156, v[4:5] offset:128
	s_waitcnt lgkmcnt(0)
	; wave barrier
	s_waitcnt lgkmcnt(0)
	ds_read2_b64 v[12:15], v143 offset1:63
	ds_read2_b64 v[44:47], v65 offset0:120 offset1:183
	ds_read2_b64 v[40:43], v147 offset0:112 offset1:175
	;; [unrolled: 1-line block ×11, first 2 shown]
	s_waitcnt lgkmcnt(0)
	; wave barrier
	s_waitcnt lgkmcnt(0)
	ds_write2_b64 v63, v[74:75], v[81:82] offset1:8
	v_add_f64 v[59:60], v[77:78], v[59:60]
	v_add_f64 v[77:78], v[85:86], -v[99:100]
	v_add_f64 v[81:82], v[83:84], v[97:98]
	v_add_f64 v[83:84], v[101:102], -v[103:104]
	v_add_f64 v[87:88], v[111:112], -v[123:124]
	v_add_f64 v[49:50], v[66:67], v[49:50]
	v_fma_f64 v[66:67], v[51:52], s[6:7], v[109:110]
	v_fma_f64 v[51:52], v[51:52], s[4:5], v[109:110]
	v_add_f64 v[57:58], v[125:126], v[57:58]
	v_fma_f64 v[74:75], v[53:54], s[6:7], v[127:128]
	v_fma_f64 v[53:54], v[53:54], s[4:5], v[127:128]
	;; [unrolled: 1-line block ×6, first 2 shown]
	v_add_f64 v[89:90], v[91:92], v[95:96]
	v_fma_f64 v[91:92], v[77:78], s[6:7], v[135:136]
	v_fma_f64 v[77:78], v[77:78], s[4:5], v[135:136]
	v_add_f64 v[93:94], v[105:106], v[121:122]
	v_fma_f64 v[95:96], v[83:84], s[6:7], v[137:138]
	v_fma_f64 v[83:84], v[83:84], s[4:5], v[137:138]
	;; [unrolled: 3-line block ×3, first 2 shown]
	ds_write_b64 v63, v[55:56] offset:128
	ds_write2_b64 v113, v[49:50], v[66:67] offset1:8
	ds_write_b64 v113, v[51:52] offset:128
	ds_write2_b64 v141, v[57:58], v[74:75] offset1:8
	ds_write_b64 v141, v[53:54] offset:128
	ds_write2_b64 v152, v[59:60], v[79:80] offset1:8
	ds_write_b64 v152, v[61:62] offset:128
	ds_write2_b64 v153, v[81:82], v[85:86] offset1:8
	ds_write_b64 v153, v[70:71] offset:128
	ds_write2_b64 v154, v[89:90], v[91:92] offset1:8
	ds_write_b64 v154, v[77:78] offset:128
	ds_write2_b64 v155, v[93:94], v[95:96] offset1:8
	ds_write_b64 v155, v[83:84] offset:128
	ds_write2_b64 v156, v[97:98], v[99:100] offset1:8
	ds_write_b64 v156, v[87:88] offset:128
	v_mul_lo_u16_sdwa v49, v114, s0 dst_sel:DWORD dst_unused:UNUSED_PAD src0_sel:BYTE_0 src1_sel:DWORD
	v_lshrrev_b16_e32 v51, 12, v49
	v_mul_lo_u16_e32 v49, 24, v51
	v_sub_u16_e32 v55, v114, v49
	v_mov_b32_e32 v50, 5
	v_lshlrev_b32_sdwa v49, v50, v55 dst_sel:DWORD dst_unused:UNUSED_PAD src0_sel:DWORD src1_sel:BYTE_0
	s_waitcnt lgkmcnt(0)
	; wave barrier
	s_waitcnt lgkmcnt(0)
	global_load_dwordx4 v[77:80], v49, s[8:9] offset:352
	global_load_dwordx4 v[81:84], v49, s[8:9] offset:368
	v_mul_lo_u16_sdwa v49, v76, s0 dst_sel:DWORD dst_unused:UNUSED_PAD src0_sel:BYTE_0 src1_sel:DWORD
	v_lshrrev_b16_e32 v53, 12, v49
	v_mul_lo_u16_e32 v49, 24, v53
	v_sub_u16_e32 v54, v76, v49
	v_lshlrev_b32_sdwa v49, v50, v54 dst_sel:DWORD dst_unused:UNUSED_PAD src0_sel:DWORD src1_sel:BYTE_0
	global_load_dwordx4 v[85:88], v49, s[8:9] offset:352
	global_load_dwordx4 v[89:92], v49, s[8:9] offset:368
	v_mul_lo_u16_sdwa v49, v115, s0 dst_sel:DWORD dst_unused:UNUSED_PAD src0_sel:BYTE_0 src1_sel:DWORD
	v_lshrrev_b16_e32 v56, 12, v49
	v_mul_lo_u16_e32 v49, 24, v56
	v_sub_u16_e32 v57, v115, v49
	v_lshlrev_b32_sdwa v58, v50, v57 dst_sel:DWORD dst_unused:UNUSED_PAD src0_sel:DWORD src1_sel:BYTE_0
	global_load_dwordx4 v[93:96], v58, s[8:9] offset:352
	v_mul_lo_u16_sdwa v49, v142, s0 dst_sel:DWORD dst_unused:UNUSED_PAD src0_sel:BYTE_0 src1_sel:DWORD
	v_lshrrev_b16_e32 v49, 12, v49
	v_mul_lo_u16_e32 v52, 24, v49
	v_sub_u16_e32 v52, v142, v52
	v_lshlrev_b32_sdwa v59, v50, v52 dst_sel:DWORD dst_unused:UNUSED_PAD src0_sel:DWORD src1_sel:BYTE_0
	s_mov_b32 s0, 0xaaab
	global_load_dwordx4 v[97:100], v59, s[8:9] offset:352
	global_load_dwordx4 v[101:104], v58, s[8:9] offset:368
	global_load_dwordx4 v[105:108], v59, s[8:9] offset:368
	v_mul_u32_u24_sdwa v58, v73, s0 dst_sel:DWORD dst_unused:UNUSED_PAD src0_sel:WORD_0 src1_sel:DWORD
	v_lshrrev_b32_e32 v60, 20, v58
	v_mul_lo_u16_e32 v58, 24, v60
	v_sub_u16_e32 v61, v73, v58
	v_lshlrev_b32_e32 v62, 5, v61
	global_load_dwordx4 v[109:112], v62, s[8:9] offset:352
	v_mul_u32_u24_sdwa v58, v72, s0 dst_sel:DWORD dst_unused:UNUSED_PAD src0_sel:WORD_0 src1_sel:DWORD
	v_lshrrev_b32_e32 v59, 20, v58
	v_mul_lo_u16_e32 v58, 24, v59
	v_sub_u16_e32 v58, v72, v58
	v_lshlrev_b32_e32 v63, 5, v58
	global_load_dwordx4 v[119:122], v63, s[8:9] offset:352
	global_load_dwordx4 v[123:126], v62, s[8:9] offset:368
	;; [unrolled: 1-line block ×3, first 2 shown]
	v_mul_u32_u24_sdwa v62, v69, s0 dst_sel:DWORD dst_unused:UNUSED_PAD src0_sel:WORD_0 src1_sel:DWORD
	v_lshrrev_b32_e32 v113, 20, v62
	v_mul_lo_u16_e32 v62, 24, v113
	v_sub_u16_e32 v139, v69, v62
	v_lshlrev_b32_e32 v62, 5, v139
	global_load_dwordx4 v[131:134], v62, s[8:9] offset:352
	v_mul_u32_u24_sdwa v63, v68, s0 dst_sel:DWORD dst_unused:UNUSED_PAD src0_sel:WORD_0 src1_sel:DWORD
	v_lshrrev_b32_e32 v140, 20, v63
	v_mul_lo_u16_e32 v63, 24, v140
	v_sub_u16_e32 v141, v68, v63
	v_lshlrev_b32_e32 v63, 5, v141
	global_load_dwordx4 v[135:138], v63, s[8:9] offset:352
	global_load_dwordx4 v[152:155], v62, s[8:9] offset:368
	;; [unrolled: 1-line block ×3, first 2 shown]
	ds_read2_b64 v[160:163], v65 offset0:120 offset1:183
	ds_read2_b64 v[164:167], v147 offset0:112 offset1:175
	;; [unrolled: 1-line block ×3, first 2 shown]
	s_waitcnt vmcnt(15) lgkmcnt(2)
	v_mul_f64 v[62:63], v[160:161], v[79:80]
	v_mul_f64 v[66:67], v[44:45], v[79:80]
	s_waitcnt vmcnt(14)
	v_mul_f64 v[70:71], v[40:41], v[83:84]
	s_waitcnt vmcnt(13)
	v_mul_f64 v[74:75], v[162:163], v[87:88]
	v_mul_f64 v[79:80], v[46:47], v[87:88]
	v_fma_f64 v[62:63], v[44:45], v[77:78], -v[62:63]
	s_waitcnt lgkmcnt(1)
	v_mul_f64 v[44:45], v[164:165], v[83:84]
	s_waitcnt vmcnt(12)
	v_mul_f64 v[83:84], v[166:167], v[91:92]
	v_fma_f64 v[66:67], v[160:161], v[77:78], v[66:67]
	v_mul_f64 v[87:88], v[42:43], v[91:92]
	s_waitcnt vmcnt(11) lgkmcnt(0)
	v_mul_f64 v[77:78], v[168:169], v[95:96]
	v_fma_f64 v[70:71], v[164:165], v[81:82], v[70:71]
	v_fma_f64 v[74:75], v[46:47], v[85:86], -v[74:75]
	v_fma_f64 v[79:80], v[162:163], v[85:86], v[79:80]
	v_fma_f64 v[91:92], v[40:41], v[81:82], -v[44:45]
	v_fma_f64 v[81:82], v[42:43], v[89:90], -v[83:84]
	ds_read2_b64 v[40:43], v148 offset0:110 offset1:173
	v_fma_f64 v[83:84], v[166:167], v[89:90], v[87:88]
	v_fma_f64 v[77:78], v[36:37], v[93:94], -v[77:78]
	v_mul_f64 v[36:37], v[36:37], v[95:96]
	s_waitcnt vmcnt(10)
	v_mul_f64 v[85:86], v[170:171], v[99:100]
	v_mul_f64 v[87:88], v[38:39], v[99:100]
	s_waitcnt vmcnt(9) lgkmcnt(0)
	v_mul_f64 v[89:90], v[40:41], v[103:104]
	s_waitcnt vmcnt(8)
	v_mul_f64 v[99:100], v[42:43], v[107:108]
	ds_read2_b64 v[44:47], v144 offset0:116 offset1:179
	v_mul_f64 v[95:96], v[32:33], v[103:104]
	v_mul_f64 v[103:104], v[34:35], v[107:108]
	v_fma_f64 v[93:94], v[168:169], v[93:94], v[36:37]
	v_fma_f64 v[85:86], v[38:39], v[97:98], -v[85:86]
	s_waitcnt vmcnt(7) lgkmcnt(0)
	v_mul_f64 v[36:37], v[44:45], v[111:112]
	v_fma_f64 v[87:88], v[170:171], v[97:98], v[87:88]
	v_fma_f64 v[89:90], v[32:33], v[101:102], -v[89:90]
	v_fma_f64 v[97:98], v[34:35], v[105:106], -v[99:100]
	ds_read2_b64 v[32:35], v64 offset0:108 offset1:171
	v_fma_f64 v[95:96], v[40:41], v[101:102], v[95:96]
	v_fma_f64 v[99:100], v[42:43], v[105:106], v[103:104]
	v_mul_f64 v[40:41], v[24:25], v[111:112]
	s_waitcnt vmcnt(6)
	v_mul_f64 v[42:43], v[46:47], v[121:122]
	v_mul_f64 v[101:102], v[26:27], v[121:122]
	v_fma_f64 v[103:104], v[24:25], v[109:110], -v[36:37]
	s_waitcnt vmcnt(5) lgkmcnt(0)
	v_mul_f64 v[24:25], v[32:33], v[125:126]
	v_mul_f64 v[105:106], v[28:29], v[125:126]
	ds_read2_b64 v[36:39], v145 offset0:114 offset1:177
	s_waitcnt vmcnt(4)
	v_mul_f64 v[107:108], v[34:35], v[129:130]
	v_fma_f64 v[40:41], v[44:45], v[109:110], v[40:41]
	v_fma_f64 v[109:110], v[26:27], v[119:120], -v[42:43]
	v_fma_f64 v[42:43], v[46:47], v[119:120], v[101:102]
	v_mul_f64 v[44:45], v[30:31], v[129:130]
	v_fma_f64 v[101:102], v[28:29], v[123:124], -v[24:25]
	s_waitcnt vmcnt(3)
	v_mul_f64 v[28:29], v[20:21], v[133:134]
	ds_read2_b64 v[24:27], v149 offset0:106 offset1:169
	s_waitcnt lgkmcnt(1)
	v_mul_f64 v[46:47], v[36:37], v[133:134]
	v_fma_f64 v[105:106], v[32:33], v[123:124], v[105:106]
	v_fma_f64 v[107:108], v[30:31], v[127:128], -v[107:108]
	s_waitcnt vmcnt(2)
	v_mul_f64 v[30:31], v[38:39], v[137:138]
	s_waitcnt vmcnt(1) lgkmcnt(0)
	v_mul_f64 v[32:33], v[24:25], v[154:155]
	v_fma_f64 v[111:112], v[34:35], v[127:128], v[44:45]
	v_fma_f64 v[36:37], v[36:37], v[131:132], v[28:29]
	v_add_f64 v[28:29], v[62:63], v[91:92]
	v_mul_f64 v[34:35], v[16:17], v[154:155]
	v_fma_f64 v[119:120], v[20:21], v[131:132], -v[46:47]
	v_mul_f64 v[20:21], v[22:23], v[137:138]
	v_fma_f64 v[121:122], v[22:23], v[135:136], -v[30:31]
	v_fma_f64 v[123:124], v[16:17], v[152:153], -v[32:33]
	v_add_f64 v[16:17], v[12:13], v[62:63]
	v_add_f64 v[32:33], v[66:67], -v[70:71]
	v_fma_f64 v[12:13], v[28:29], -0.5, v[12:13]
	s_waitcnt vmcnt(0)
	v_mul_f64 v[22:23], v[26:27], v[158:159]
	v_mul_f64 v[30:31], v[18:19], v[158:159]
	v_fma_f64 v[125:126], v[24:25], v[152:153], v[34:35]
	v_add_f64 v[46:47], v[74:75], v[81:82]
	v_fma_f64 v[38:39], v[38:39], v[135:136], v[20:21]
	v_add_f64 v[34:35], v[16:17], v[91:92]
	v_add_f64 v[131:132], v[79:80], -v[83:84]
	v_fma_f64 v[44:45], v[32:33], s[4:5], v[12:13]
	v_fma_f64 v[127:128], v[18:19], v[156:157], -v[22:23]
	v_mul_u32_u24_e32 v18, 0x240, v51
	v_mov_b32_e32 v51, 3
	v_lshlrev_b32_sdwa v19, v51, v55 dst_sel:DWORD dst_unused:UNUSED_PAD src0_sel:DWORD src1_sel:BYTE_0
	v_add3_u32 v154, 0, v18, v19
	v_fma_f64 v[129:130], v[26:27], v[156:157], v[30:31]
	ds_read2_b64 v[16:19], v143 offset1:63
	ds_read2_b64 v[20:23], v143 offset0:126 offset1:189
	ds_read2_b64 v[24:27], v118 offset0:124 offset1:187
	;; [unrolled: 1-line block ×3, first 2 shown]
	s_waitcnt lgkmcnt(0)
	; wave barrier
	s_waitcnt lgkmcnt(0)
	ds_write2_b64 v154, v[34:35], v[44:45] offset1:24
	v_add_f64 v[34:35], v[66:67], v[70:71]
	v_add_f64 v[44:45], v[79:80], v[83:84]
	v_fma_f64 v[12:13], v[32:33], s[6:7], v[12:13]
	v_fma_f64 v[32:33], v[46:47], -0.5, v[14:15]
	v_add_f64 v[46:47], v[77:78], v[89:90]
	v_add_f64 v[14:15], v[14:15], v[74:75]
	;; [unrolled: 1-line block ×4, first 2 shown]
	v_fma_f64 v[16:17], v[34:35], -0.5, v[16:17]
	v_fma_f64 v[133:134], v[44:45], -0.5, v[18:19]
	v_add_f64 v[18:19], v[8:9], v[77:78]
	v_add_f64 v[34:35], v[93:94], -v[95:96]
	v_fma_f64 v[8:9], v[46:47], -0.5, v[8:9]
	v_add_f64 v[14:15], v[14:15], v[81:82]
	v_fma_f64 v[44:45], v[131:132], s[4:5], v[32:33]
	v_fma_f64 v[32:33], v[131:132], s[6:7], v[32:33]
	v_mul_u32_u24_e32 v46, 0x240, v53
	v_lshlrev_b32_sdwa v47, v51, v54 dst_sel:DWORD dst_unused:UNUSED_PAD src0_sel:DWORD src1_sel:BYTE_0
	v_add3_u32 v155, 0, v46, v47
	ds_write_b64 v154, v[12:13] offset:384
	v_add_f64 v[12:13], v[18:19], v[89:90]
	v_fma_f64 v[18:19], v[34:35], s[4:5], v[8:9]
	ds_write2_b64 v155, v[14:15], v[44:45] offset1:24
	ds_write_b64 v155, v[32:33] offset:384
	v_add_f64 v[14:15], v[85:86], v[97:98]
	v_mul_u32_u24_e32 v32, 0x240, v56
	v_lshlrev_b32_sdwa v33, v51, v57 dst_sel:DWORD dst_unused:UNUSED_PAD src0_sel:DWORD src1_sel:BYTE_0
	v_add3_u32 v156, 0, v32, v33
	v_fma_f64 v[8:9], v[34:35], s[6:7], v[8:9]
	v_add_f64 v[32:33], v[103:104], v[101:102]
	ds_write2_b64 v156, v[12:13], v[18:19] offset1:24
	v_add_f64 v[12:13], v[93:94], v[95:96]
	v_add_f64 v[18:19], v[87:88], v[99:100]
	v_fma_f64 v[14:15], v[14:15], -0.5, v[10:11]
	v_add_f64 v[10:11], v[10:11], v[85:86]
	v_add_f64 v[34:35], v[87:88], -v[99:100]
	v_add_f64 v[53:54], v[20:21], v[93:94]
	v_add_f64 v[87:88], v[22:23], v[87:88]
	ds_write_b64 v156, v[8:9] offset:384
	v_fma_f64 v[55:56], v[12:13], -0.5, v[20:21]
	v_fma_f64 v[93:94], v[18:19], -0.5, v[22:23]
	v_add_f64 v[12:13], v[4:5], v[103:104]
	v_fma_f64 v[4:5], v[32:33], -0.5, v[4:5]
	v_add_f64 v[18:19], v[40:41], -v[105:106]
	v_add_f64 v[10:11], v[10:11], v[97:98]
	v_fma_f64 v[20:21], v[34:35], s[4:5], v[14:15]
	v_fma_f64 v[8:9], v[34:35], s[6:7], v[14:15]
	v_mul_u32_u24_e32 v22, 0x240, v49
	v_lshlrev_b32_sdwa v23, v51, v52 dst_sel:DWORD dst_unused:UNUSED_PAD src0_sel:DWORD src1_sel:BYTE_0
	v_add3_u32 v49, 0, v22, v23
	v_add_f64 v[12:13], v[12:13], v[101:102]
	v_fma_f64 v[14:15], v[18:19], s[4:5], v[4:5]
	v_fma_f64 v[4:5], v[18:19], s[6:7], v[4:5]
	ds_write2_b64 v49, v[10:11], v[20:21] offset1:24
	v_add_f64 v[10:11], v[109:110], v[107:108]
	ds_write_b64 v49, v[8:9] offset:384
	v_mul_u32_u24_e32 v8, 0x240, v60
	v_lshlrev_b32_e32 v9, 3, v61
	v_add3_u32 v157, 0, v8, v9
	ds_write2_b64 v157, v[12:13], v[14:15] offset1:24
	v_add_f64 v[8:9], v[40:41], v[105:106]
	v_add_f64 v[14:15], v[42:43], -v[111:112]
	v_fma_f64 v[10:11], v[10:11], -0.5, v[6:7]
	v_add_f64 v[6:7], v[6:7], v[109:110]
	v_add_f64 v[18:19], v[119:120], v[123:124]
	;; [unrolled: 1-line block ×3, first 2 shown]
	ds_write_b64 v157, v[4:5] offset:384
	v_mul_u32_u24_e32 v20, 0x240, v59
	v_fma_f64 v[131:132], v[8:9], -0.5, v[24:25]
	v_add_f64 v[22:23], v[38:39], -v[129:130]
	v_fma_f64 v[8:9], v[14:15], s[4:5], v[10:11]
	v_add_f64 v[6:7], v[6:7], v[107:108]
	v_fma_f64 v[4:5], v[18:19], -0.5, v[0:1]
	v_lshlrev_b32_e32 v18, 3, v58
	v_fma_f64 v[135:136], v[12:13], -0.5, v[26:27]
	v_add_f64 v[12:13], v[36:37], -v[125:126]
	v_add3_u32 v158, 0, v20, v18
	v_add_f64 v[18:19], v[121:122], v[127:128]
	v_add_f64 v[0:1], v[0:1], v[119:120]
	ds_write2_b64 v158, v[6:7], v[8:9] offset1:24
	v_fma_f64 v[6:7], v[14:15], s[6:7], v[10:11]
	v_add_f64 v[20:21], v[62:63], -v[91:92]
	v_add_f64 v[10:11], v[36:37], v[125:126]
	v_fma_f64 v[8:9], v[12:13], s[4:5], v[4:5]
	v_fma_f64 v[4:5], v[12:13], s[6:7], v[4:5]
	v_fma_f64 v[18:19], v[18:19], -0.5, v[2:3]
	v_add_f64 v[2:3], v[2:3], v[121:122]
	v_add_f64 v[0:1], v[0:1], v[123:124]
	ds_write_b64 v158, v[6:7] offset:384
	v_mul_u32_u24_e32 v6, 0x240, v113
	v_lshlrev_b32_e32 v7, 3, v139
	v_add3_u32 v113, 0, v6, v7
	v_add_f64 v[57:58], v[66:67], v[70:71]
	v_add_f64 v[14:15], v[38:39], v[129:130]
	v_fma_f64 v[66:67], v[10:11], -0.5, v[28:29]
	v_fma_f64 v[10:11], v[22:23], s[4:5], v[18:19]
	v_add_f64 v[2:3], v[2:3], v[127:128]
	ds_write2_b64 v113, v[0:1], v[8:9] offset1:24
	ds_write_b64 v113, v[4:5] offset:384
	v_mul_u32_u24_e32 v0, 0x240, v140
	v_fma_f64 v[139:140], v[20:21], s[6:7], v[16:17]
	v_fma_f64 v[12:13], v[22:23], s[6:7], v[18:19]
	v_lshlrev_b32_e32 v1, 3, v141
	v_add3_u32 v141, 0, v0, v1
	v_add_f64 v[60:61], v[24:25], v[40:41]
	v_add_f64 v[137:138], v[26:27], v[42:43]
	;; [unrolled: 1-line block ×3, first 2 shown]
	v_fma_f64 v[70:71], v[14:15], -0.5, v[30:31]
	v_add_f64 v[91:92], v[30:31], v[38:39]
	ds_write2_b64 v141, v[2:3], v[10:11] offset1:24
	ds_write_b64 v141, v[12:13] offset:384
	s_waitcnt lgkmcnt(0)
	; wave barrier
	s_waitcnt lgkmcnt(0)
	ds_read2_b64 v[12:15], v143 offset1:63
	ds_read2_b64 v[44:47], v65 offset0:120 offset1:183
	ds_read2_b64 v[40:43], v147 offset0:112 offset1:175
	;; [unrolled: 1-line block ×9, first 2 shown]
	v_fma_f64 v[152:153], v[20:21], s[4:5], v[16:17]
	ds_read2_b64 v[20:23], v145 offset0:114 offset1:177
	ds_read2_b64 v[16:19], v149 offset0:106 offset1:169
	v_add_f64 v[74:75], v[74:75], -v[81:82]
	s_waitcnt lgkmcnt(0)
	; wave barrier
	s_waitcnt lgkmcnt(0)
	ds_write2_b64 v154, v[57:58], v[139:140] offset1:24
	v_add_f64 v[57:58], v[77:78], -v[89:90]
	v_add_f64 v[77:78], v[79:80], v[83:84]
	v_add_f64 v[79:80], v[85:86], -v[97:98]
	v_add_f64 v[83:84], v[103:104], -v[101:102]
	v_fma_f64 v[81:82], v[74:75], s[6:7], v[133:134]
	v_add_f64 v[52:53], v[53:54], v[95:96]
	v_add_f64 v[89:90], v[119:120], -v[123:124]
	v_add_f64 v[95:96], v[121:122], -v[127:128]
	v_fma_f64 v[85:86], v[57:58], s[6:7], v[55:56]
	v_fma_f64 v[54:55], v[57:58], s[4:5], v[55:56]
	v_add_f64 v[58:59], v[109:110], -v[107:108]
	v_fma_f64 v[74:75], v[74:75], s[4:5], v[133:134]
	v_add_f64 v[56:57], v[87:88], v[99:100]
	v_fma_f64 v[87:88], v[79:80], s[6:7], v[93:94]
	v_fma_f64 v[79:80], v[79:80], s[4:5], v[93:94]
	v_add_f64 v[60:61], v[60:61], v[105:106]
	v_fma_f64 v[93:94], v[83:84], s[6:7], v[131:132]
	v_fma_f64 v[83:84], v[83:84], s[4:5], v[131:132]
	ds_write_b64 v154, v[152:153] offset:384
	v_add_f64 v[97:98], v[137:138], v[111:112]
	v_fma_f64 v[99:100], v[58:59], s[6:7], v[135:136]
	v_fma_f64 v[58:59], v[58:59], s[4:5], v[135:136]
	v_add_f64 v[62:63], v[62:63], v[125:126]
	v_fma_f64 v[101:102], v[89:90], s[6:7], v[66:67]
	v_fma_f64 v[66:67], v[89:90], s[4:5], v[66:67]
	;; [unrolled: 3-line block ×3, first 2 shown]
	ds_write2_b64 v155, v[77:78], v[81:82] offset1:24
	ds_write_b64 v155, v[74:75] offset:384
	ds_write2_b64 v156, v[52:53], v[85:86] offset1:24
	ds_write_b64 v156, v[54:55] offset:384
	;; [unrolled: 2-line block ×7, first 2 shown]
	v_mov_b32_e32 v49, 0
	v_lshlrev_b64 v[52:53], 4, v[48:49]
	v_mov_b32_e32 v56, s9
	v_add_co_u32_e64 v66, s[0:1], s8, v52
	v_addc_co_u32_e64 v67, s[0:1], v56, v53, s[0:1]
	s_waitcnt lgkmcnt(0)
	; wave barrier
	s_waitcnt lgkmcnt(0)
	global_load_dwordx4 v[52:55], v[66:67], off offset:1120
	v_add_u32_e32 v48, -9, v114
	v_cmp_gt_u32_e64 s[0:1], 9, v114
	v_cndmask_b32_e64 v83, v48, v76, s[0:1]
	v_lshlrev_b32_e32 v48, 1, v83
	v_lshlrev_b64 v[48:49], 4, v[48:49]
	v_add_co_u32_e64 v48, s[0:1], s8, v48
	v_addc_co_u32_e64 v49, s[0:1], v56, v49, s[0:1]
	global_load_dwordx4 v[56:59], v[48:49], off offset:1120
	global_load_dwordx4 v[60:63], v[66:67], off offset:1136
	;; [unrolled: 1-line block ×3, first 2 shown]
	v_mov_b32_e32 v48, 57
	v_mul_lo_u16_sdwa v49, v115, v48 dst_sel:DWORD dst_unused:UNUSED_PAD src0_sel:BYTE_0 src1_sel:DWORD
	v_lshrrev_b16_e32 v84, 12, v49
	v_mul_lo_u16_e32 v49, 0x48, v84
	v_sub_u16_e32 v85, v115, v49
	v_lshlrev_b32_sdwa v49, v50, v85 dst_sel:DWORD dst_unused:UNUSED_PAD src0_sel:DWORD src1_sel:BYTE_0
	v_mul_lo_u16_sdwa v48, v142, v48 dst_sel:DWORD dst_unused:UNUSED_PAD src0_sel:BYTE_0 src1_sel:DWORD
	global_load_dwordx4 v[86:89], v49, s[8:9] offset:1120
	v_lshrrev_b16_e32 v80, 12, v48
	v_mul_lo_u16_e32 v48, 0x48, v80
	v_sub_u16_e32 v81, v142, v48
	v_lshlrev_b32_sdwa v48, v50, v81 dst_sel:DWORD dst_unused:UNUSED_PAD src0_sel:DWORD src1_sel:BYTE_0
	global_load_dwordx4 v[90:93], v48, s[8:9] offset:1120
	global_load_dwordx4 v[94:97], v49, s[8:9] offset:1136
	;; [unrolled: 1-line block ×3, first 2 shown]
	s_mov_b32 s0, 0xe38f
	v_mul_u32_u24_sdwa v48, v73, s0 dst_sel:DWORD dst_unused:UNUSED_PAD src0_sel:WORD_0 src1_sel:DWORD
	v_lshrrev_b32_e32 v48, 22, v48
	v_mul_lo_u16_e32 v49, 0x48, v48
	v_sub_u16_e32 v49, v73, v49
	v_lshlrev_b32_e32 v66, 5, v49
	v_mul_u32_u24_sdwa v50, v72, s0 dst_sel:DWORD dst_unused:UNUSED_PAD src0_sel:WORD_0 src1_sel:DWORD
	global_load_dwordx4 v[132:135], v66, s[8:9] offset:1120
	v_lshrrev_b32_e32 v50, 22, v50
	v_mul_lo_u16_e32 v67, 0x48, v50
	v_sub_u16_e32 v82, v72, v67
	v_lshlrev_b32_e32 v67, 5, v82
	global_load_dwordx4 v[136:139], v67, s[8:9] offset:1120
	global_load_dwordx4 v[152:155], v66, s[8:9] offset:1136
	;; [unrolled: 1-line block ×3, first 2 shown]
	v_mul_u32_u24_sdwa v66, v69, s0 dst_sel:DWORD dst_unused:UNUSED_PAD src0_sel:WORD_0 src1_sel:DWORD
	v_lshrrev_b32_e32 v119, 22, v66
	v_mul_lo_u16_e32 v66, 0x48, v119
	v_sub_u16_e32 v176, v69, v66
	v_lshlrev_b32_e32 v66, 5, v176
	v_mul_u32_u24_sdwa v67, v68, s0 dst_sel:DWORD dst_unused:UNUSED_PAD src0_sel:WORD_0 src1_sel:DWORD
	global_load_dwordx4 v[160:163], v66, s[8:9] offset:1120
	v_lshrrev_b32_e32 v67, 22, v67
	v_mul_lo_u16_e32 v67, 0x48, v67
	v_sub_u16_e32 v177, v68, v67
	v_lshlrev_b32_e32 v67, 5, v177
	global_load_dwordx4 v[164:167], v67, s[8:9] offset:1120
	global_load_dwordx4 v[168:171], v66, s[8:9] offset:1136
	;; [unrolled: 1-line block ×3, first 2 shown]
	ds_read2_b64 v[65:68], v65 offset0:120 offset1:183
	ds_read2_b64 v[70:73], v147 offset0:112 offset1:175
	v_cmp_lt_u32_e64 s[0:1], 8, v114
	s_waitcnt vmcnt(15) lgkmcnt(1)
	v_mul_f64 v[78:79], v[65:66], v[54:55]
	v_mul_f64 v[54:55], v[44:45], v[54:55]
	v_fma_f64 v[98:99], v[44:45], v[52:53], -v[78:79]
	s_waitcnt vmcnt(14)
	v_mul_f64 v[106:107], v[67:68], v[58:59]
	v_mul_f64 v[58:59], v[46:47], v[58:59]
	s_waitcnt vmcnt(13) lgkmcnt(0)
	v_mul_f64 v[44:45], v[70:71], v[62:63]
	v_fma_f64 v[104:105], v[65:66], v[52:53], v[54:55]
	ds_read2_b64 v[52:55], v150 offset0:118 offset1:181
	s_waitcnt vmcnt(12)
	v_mul_f64 v[65:66], v[72:73], v[76:77]
	v_mul_f64 v[62:63], v[40:41], v[62:63]
	v_fma_f64 v[106:107], v[46:47], v[56:57], -v[106:107]
	v_fma_f64 v[112:113], v[67:68], v[56:57], v[58:59]
	s_waitcnt vmcnt(11) lgkmcnt(0)
	v_mul_f64 v[56:57], v[52:53], v[88:89]
	v_fma_f64 v[122:123], v[40:41], v[60:61], -v[44:45]
	v_mul_f64 v[44:45], v[36:37], v[88:89]
	s_waitcnt vmcnt(10)
	v_mul_f64 v[58:59], v[54:55], v[92:93]
	v_mul_f64 v[46:47], v[42:43], v[76:77]
	v_fma_f64 v[124:125], v[42:43], v[74:75], -v[65:66]
	ds_read2_b64 v[40:43], v148 offset0:110 offset1:173
	v_fma_f64 v[70:71], v[70:71], v[60:61], v[62:63]
	v_fma_f64 v[110:111], v[36:37], v[86:87], -v[56:57]
	v_mul_f64 v[36:37], v[38:39], v[92:93]
	v_fma_f64 v[126:127], v[52:53], v[86:87], v[44:45]
	s_waitcnt vmcnt(9)
	v_mul_f64 v[52:53], v[32:33], v[96:97]
	v_fma_f64 v[66:67], v[38:39], v[90:91], -v[58:59]
	s_waitcnt vmcnt(8)
	v_mul_f64 v[38:39], v[34:35], v[102:103]
	v_fma_f64 v[76:77], v[72:73], v[74:75], v[46:47]
	s_waitcnt lgkmcnt(0)
	v_mul_f64 v[56:57], v[40:41], v[96:97]
	v_mul_f64 v[60:61], v[42:43], v[102:103]
	ds_read2_b64 v[44:47], v144 offset0:116 offset1:179
	v_fma_f64 v[74:75], v[54:55], v[90:91], v[36:37]
	v_fma_f64 v[72:73], v[40:41], v[94:95], v[52:53]
	s_waitcnt vmcnt(7)
	v_mul_f64 v[40:41], v[28:29], v[134:135]
	v_fma_f64 v[68:69], v[42:43], v[100:101], v[38:39]
	s_waitcnt lgkmcnt(0)
	v_mul_f64 v[36:37], v[44:45], v[134:135]
	s_waitcnt vmcnt(6)
	v_mul_f64 v[42:43], v[46:47], v[138:139]
	v_fma_f64 v[130:131], v[32:33], v[94:95], -v[56:57]
	v_fma_f64 v[78:79], v[34:35], v[100:101], -v[60:61]
	ds_read2_b64 v[32:35], v64 offset0:108 offset1:171
	v_mul_f64 v[52:53], v[30:31], v[138:139]
	v_fma_f64 v[100:101], v[44:45], v[132:133], v[40:41]
	s_waitcnt vmcnt(5)
	v_mul_f64 v[40:41], v[24:25], v[154:155]
	v_fma_f64 v[92:93], v[28:29], v[132:133], -v[36:37]
	s_waitcnt lgkmcnt(0)
	v_mul_f64 v[28:29], v[32:33], v[154:155]
	v_fma_f64 v[60:61], v[30:31], v[136:137], -v[42:43]
	s_waitcnt vmcnt(4)
	v_mul_f64 v[30:31], v[26:27], v[158:159]
	v_mul_f64 v[44:45], v[34:35], v[158:159]
	ds_read2_b64 v[36:39], v145 offset0:114 offset1:177
	v_fma_f64 v[62:63], v[46:47], v[136:137], v[52:53]
	v_fma_f64 v[102:103], v[32:33], v[152:153], v[40:41]
	s_waitcnt vmcnt(3)
	v_mul_f64 v[32:33], v[20:21], v[162:163]
	v_fma_f64 v[120:121], v[24:25], v[152:153], -v[28:29]
	s_waitcnt lgkmcnt(0)
	v_mul_f64 v[28:29], v[36:37], v[162:163]
	v_fma_f64 v[94:95], v[34:35], v[156:157], v[30:31]
	s_waitcnt vmcnt(2)
	v_mul_f64 v[30:31], v[22:23], v[166:167]
	v_fma_f64 v[64:65], v[26:27], v[156:157], -v[44:45]
	ds_read2_b64 v[24:27], v149 offset0:106 offset1:169
	v_mul_f64 v[40:41], v[38:39], v[166:167]
	v_fma_f64 v[128:129], v[36:37], v[160:161], v[32:33]
	v_add_f64 v[32:33], v[98:99], v[122:123]
	v_fma_f64 v[108:109], v[20:21], v[160:161], -v[28:29]
	s_waitcnt vmcnt(1) lgkmcnt(0)
	v_mul_f64 v[20:21], v[24:25], v[170:171]
	v_mul_f64 v[28:29], v[16:17], v[170:171]
	v_fma_f64 v[136:137], v[38:39], v[164:165], v[30:31]
	s_waitcnt vmcnt(0)
	v_mul_f64 v[30:31], v[18:19], v[174:175]
	v_fma_f64 v[132:133], v[22:23], v[164:165], -v[40:41]
	v_mul_f64 v[22:23], v[26:27], v[174:175]
	ds_read2_b64 v[56:59], v143 offset1:63
	ds_read2_b64 v[52:55], v143 offset0:126 offset1:189
	v_fma_f64 v[138:139], v[16:17], v[168:169], -v[20:21]
	v_fma_f64 v[134:135], v[24:25], v[168:169], v[28:29]
	v_add_f64 v[16:17], v[12:13], v[98:99]
	v_fma_f64 v[24:25], v[32:33], -0.5, v[12:13]
	v_add_f64 v[28:29], v[104:105], -v[70:71]
	v_fma_f64 v[12:13], v[26:27], v[172:173], v[30:31]
	v_add_f64 v[26:27], v[106:107], v[124:125]
	v_fma_f64 v[140:141], v[18:19], v[172:173], -v[22:23]
	ds_read2_b64 v[20:23], v118 offset0:124 offset1:187
	v_add_f64 v[34:35], v[100:101], -v[102:103]
	v_add_f64 v[30:31], v[16:17], v[122:123]
	ds_read2_b64 v[16:19], v146 offset0:122 offset1:185
	v_fma_f64 v[32:33], v[28:29], s[4:5], v[24:25]
	v_fma_f64 v[24:25], v[28:29], s[6:7], v[24:25]
	v_fma_f64 v[26:27], v[26:27], -0.5, v[14:15]
	v_add_f64 v[14:15], v[14:15], v[106:107]
	v_add_f64 v[28:29], v[112:113], -v[76:77]
	s_waitcnt lgkmcnt(0)
	; wave barrier
	s_waitcnt lgkmcnt(0)
	ds_write2_b64 v143, v[30:31], v[32:33] offset1:72
	ds_write_b64 v143, v[24:25] offset:1152
	v_add_f64 v[24:25], v[110:111], v[130:131]
	v_mov_b32_e32 v30, 0x6c0
	v_cndmask_b32_e64 v32, 0, v30, s[0:1]
	v_add_f64 v[14:15], v[14:15], v[124:125]
	v_fma_f64 v[30:31], v[28:29], s[4:5], v[26:27]
	v_lshlrev_b32_e32 v33, 3, v83
	v_fma_f64 v[26:27], v[28:29], s[6:7], v[26:27]
	v_add_f64 v[28:29], v[8:9], v[110:111]
	v_fma_f64 v[8:9], v[24:25], -0.5, v[8:9]
	v_add_f64 v[24:25], v[126:127], -v[72:73]
	v_add3_u32 v152, 0, v32, v33
	v_add_f64 v[32:33], v[66:67], v[78:79]
	ds_write2_b64 v152, v[14:15], v[30:31] offset1:72
	v_add_f64 v[14:15], v[92:93], v[120:121]
	ds_write_b64 v152, v[26:27] offset:1152
	v_add_f64 v[26:27], v[28:29], v[130:131]
	v_mul_u32_u24_e32 v36, 0x6c0, v84
	v_fma_f64 v[28:29], v[24:25], s[4:5], v[8:9]
	v_lshlrev_b32_sdwa v37, v51, v85 dst_sel:DWORD dst_unused:UNUSED_PAD src0_sel:DWORD src1_sel:BYTE_0
	v_fma_f64 v[30:31], v[32:33], -0.5, v[10:11]
	v_add_f64 v[32:33], v[74:75], -v[68:69]
	v_add_f64 v[10:11], v[10:11], v[66:67]
	v_fma_f64 v[14:15], v[14:15], -0.5, v[4:5]
	v_add_f64 v[4:5], v[4:5], v[92:93]
	v_fma_f64 v[8:9], v[24:25], s[6:7], v[8:9]
	v_add3_u32 v153, 0, v36, v37
	v_add_f64 v[36:37], v[60:61], v[64:65]
	ds_write2_b64 v153, v[26:27], v[28:29] offset1:72
	v_fma_f64 v[24:25], v[32:33], s[4:5], v[30:31]
	v_fma_f64 v[26:27], v[32:33], s[6:7], v[30:31]
	v_add_f64 v[10:11], v[10:11], v[78:79]
	v_add_f64 v[32:33], v[108:109], v[138:139]
	v_fma_f64 v[28:29], v[34:35], s[4:5], v[14:15]
	v_fma_f64 v[14:15], v[34:35], s[6:7], v[14:15]
	v_add_f64 v[34:35], v[132:133], v[140:141]
	v_add_f64 v[4:5], v[4:5], v[120:121]
	ds_write_b64 v153, v[8:9] offset:1152
	v_lshlrev_b32_sdwa v8, v51, v81 dst_sel:DWORD dst_unused:UNUSED_PAD src0_sel:DWORD src1_sel:BYTE_0
	v_mul_u32_u24_e32 v9, 0x6c0, v80
	v_add3_u32 v154, 0, v9, v8
	v_fma_f64 v[30:31], v[36:37], -0.5, v[6:7]
	v_add_f64 v[6:7], v[6:7], v[60:61]
	ds_write2_b64 v154, v[10:11], v[24:25] offset1:72
	v_fma_f64 v[8:9], v[32:33], -0.5, v[0:1]
	v_add_f64 v[24:25], v[62:63], -v[94:95]
	v_mul_u32_u24_e32 v32, 0x6c0, v48
	v_lshlrev_b32_e32 v33, 3, v49
	v_add3_u32 v155, 0, v32, v33
	v_fma_f64 v[10:11], v[34:35], -0.5, v[2:3]
	v_add_f64 v[0:1], v[0:1], v[108:109]
	v_add_f64 v[2:3], v[2:3], v[132:133]
	ds_write_b64 v154, v[26:27] offset:1152
	v_add_f64 v[26:27], v[128:129], -v[134:135]
	ds_write2_b64 v155, v[4:5], v[28:29] offset1:72
	v_add_f64 v[4:5], v[136:137], -v[12:13]
	v_add_f64 v[6:7], v[6:7], v[64:65]
	v_fma_f64 v[28:29], v[24:25], s[4:5], v[30:31]
	v_fma_f64 v[24:25], v[24:25], s[6:7], v[30:31]
	v_add_f64 v[30:31], v[0:1], v[138:139]
	v_add_f64 v[0:1], v[2:3], v[140:141]
	v_fma_f64 v[32:33], v[26:27], s[4:5], v[8:9]
	v_fma_f64 v[8:9], v[26:27], s[6:7], v[8:9]
	v_fma_f64 v[2:3], v[4:5], s[4:5], v[10:11]
	v_fma_f64 v[4:5], v[4:5], s[6:7], v[10:11]
	v_mul_u32_u24_e32 v10, 0x6c0, v50
	v_lshlrev_b32_e32 v11, 3, v82
	v_add3_u32 v156, 0, v10, v11
	ds_write_b64 v155, v[14:15] offset:1152
	ds_write2_b64 v156, v[6:7], v[28:29] offset1:72
	ds_write_b64 v156, v[24:25] offset:1152
	v_mul_u32_u24_e32 v6, 0x6c0, v119
	v_lshlrev_b32_e32 v7, 3, v176
	v_lshl_add_u32 v158, v177, 3, 0
	v_add3_u32 v157, 0, v6, v7
	v_add_u32_e32 v159, 0x2800, v158
	ds_write2_b64 v157, v[30:31], v[32:33] offset1:72
	ds_write_b64 v157, v[8:9] offset:1152
	ds_write2_b64 v159, v[0:1], v[2:3] offset0:16 offset1:88
	ds_write_b64 v158, v[4:5] offset:11520
	s_waitcnt lgkmcnt(0)
	; wave barrier
	s_waitcnt lgkmcnt(0)
	ds_read2_b64 v[24:27], v143 offset1:63
	ds_read2_b64 v[28:31], v143 offset0:126 offset1:216
	ds_read2_b64 v[32:35], v146 offset0:176 offset1:239
	ds_read_b64 v[96:97], v143 offset:11376
	ds_read2_b64 v[44:47], v150 offset0:46 offset1:136
	ds_read2_b64 v[36:39], v145 offset0:96 offset1:159
	;; [unrolled: 1-line block ×7, first 2 shown]
	v_cmp_gt_u32_e64 s[0:1], 27, v114
                                        ; implicit-def: $vgpr118_vgpr119
                                        ; implicit-def: $vgpr10_vgpr11
	s_and_saveexec_b64 s[10:11], s[0:1]
	s_cbranch_execz .LBB0_13
; %bb.12:
	v_add_u32_e32 v0, 0x500, v143
	v_add_u32_e32 v4, 0x1300, v143
	ds_read2_b64 v[0:3], v0 offset0:29 offset1:245
	ds_read2_b64 v[4:7], v4 offset0:13 offset1:229
	;; [unrolled: 1-line block ×3, first 2 shown]
	ds_read_b64 v[118:119], v143 offset:11880
.LBB0_13:
	s_or_b64 exec, exec, s[10:11]
	v_add_f64 v[14:15], v[104:105], v[70:71]
	v_add_f64 v[104:105], v[56:57], v[104:105]
	v_add_f64 v[98:99], v[98:99], -v[122:123]
	v_add_f64 v[106:107], v[106:107], -v[124:125]
	v_add_f64 v[124:125], v[74:75], v[68:69]
	v_add_f64 v[74:75], v[54:55], v[74:75]
	v_add_f64 v[66:67], v[66:67], -v[78:79]
	v_add_f64 v[78:79], v[20:21], v[100:101]
	v_fma_f64 v[14:15], v[14:15], -0.5, v[56:57]
	v_add_f64 v[70:71], v[104:105], v[70:71]
	v_add_f64 v[160:161], v[112:113], v[76:77]
	;; [unrolled: 1-line block ×3, first 2 shown]
	v_fma_f64 v[54:55], v[124:125], -0.5, v[54:55]
	v_add_f64 v[68:69], v[74:75], v[68:69]
	v_add_f64 v[112:113], v[58:59], v[112:113]
	;; [unrolled: 1-line block ×3, first 2 shown]
	v_fma_f64 v[104:105], v[98:99], s[6:7], v[14:15]
	v_fma_f64 v[98:99], v[98:99], s[4:5], v[14:15]
	v_add_f64 v[14:15], v[100:101], v[102:103]
	v_fma_f64 v[58:59], v[160:161], -0.5, v[58:59]
	v_fma_f64 v[74:75], v[66:67], s[6:7], v[54:55]
	v_fma_f64 v[54:55], v[66:67], s[4:5], v[54:55]
	v_add_f64 v[66:67], v[78:79], v[102:103]
	v_add_f64 v[78:79], v[128:129], v[134:135]
	v_add_f64 v[110:111], v[110:111], -v[130:131]
	v_fma_f64 v[52:53], v[122:123], -0.5, v[52:53]
	v_fma_f64 v[14:15], v[14:15], -0.5, v[20:21]
	v_add_f64 v[20:21], v[92:93], -v[120:121]
	v_add_f64 v[92:93], v[62:63], v[94:95]
	v_add_f64 v[62:63], v[22:23], v[62:63]
	v_add_f64 v[60:61], v[60:61], -v[64:65]
	v_add_f64 v[64:65], v[16:17], v[128:129]
	v_fma_f64 v[16:17], v[78:79], -0.5, v[16:17]
	v_add_f64 v[78:79], v[108:109], -v[138:139]
	v_add_f64 v[102:103], v[132:133], -v[140:141]
	v_fma_f64 v[100:101], v[20:21], s[6:7], v[14:15]
	v_fma_f64 v[20:21], v[20:21], s[4:5], v[14:15]
	v_add_f64 v[14:15], v[136:137], v[12:13]
	v_fma_f64 v[22:23], v[92:93], -0.5, v[22:23]
	v_add_f64 v[92:93], v[18:19], v[136:137]
	v_add_f64 v[76:77], v[112:113], v[76:77]
	v_fma_f64 v[112:113], v[106:107], s[6:7], v[58:59]
	v_fma_f64 v[58:59], v[106:107], s[4:5], v[58:59]
	v_add_f64 v[56:57], v[56:57], v[72:73]
	v_fma_f64 v[72:73], v[110:111], s[6:7], v[52:53]
	v_fma_f64 v[18:19], v[14:15], -0.5, v[18:19]
	v_fma_f64 v[52:53], v[110:111], s[4:5], v[52:53]
	v_add_f64 v[62:63], v[62:63], v[94:95]
	v_fma_f64 v[94:95], v[60:61], s[6:7], v[22:23]
	v_fma_f64 v[22:23], v[60:61], s[4:5], v[22:23]
	v_add_f64 v[60:61], v[64:65], v[134:135]
	v_fma_f64 v[64:65], v[78:79], s[6:7], v[16:17]
	v_fma_f64 v[78:79], v[78:79], s[4:5], v[16:17]
	v_add_f64 v[12:13], v[92:93], v[12:13]
	v_fma_f64 v[14:15], v[102:103], s[6:7], v[18:19]
	v_fma_f64 v[16:17], v[102:103], s[4:5], v[18:19]
	s_waitcnt lgkmcnt(0)
	; wave barrier
	s_waitcnt lgkmcnt(0)
	ds_write2_b64 v143, v[70:71], v[104:105] offset1:72
	ds_write_b64 v143, v[98:99] offset:1152
	ds_write2_b64 v152, v[76:77], v[112:113] offset1:72
	ds_write_b64 v152, v[58:59] offset:1152
	;; [unrolled: 2-line block ×7, first 2 shown]
	ds_write2_b64 v159, v[12:13], v[14:15] offset0:16 offset1:88
	ds_write_b64 v158, v[16:17] offset:11520
	s_waitcnt lgkmcnt(0)
	; wave barrier
	s_waitcnt lgkmcnt(0)
	ds_read2_b64 v[52:55], v143 offset1:63
	ds_read2_b64 v[68:71], v143 offset0:126 offset1:216
	ds_read2_b64 v[64:67], v146 offset0:176 offset1:239
	;; [unrolled: 1-line block ×9, first 2 shown]
	ds_read_b64 v[98:99], v143 offset:11376
                                        ; implicit-def: $vgpr120_vgpr121
                                        ; implicit-def: $vgpr22_vgpr23
	s_and_saveexec_b64 s[4:5], s[0:1]
	s_cbranch_execz .LBB0_15
; %bb.14:
	v_add_u32_e32 v12, 0x500, v143
	v_add_u32_e32 v16, 0x1300, v143
	;; [unrolled: 1-line block ×3, first 2 shown]
	ds_read2_b64 v[12:15], v12 offset0:29 offset1:245
	ds_read2_b64 v[16:19], v16 offset0:13 offset1:229
	;; [unrolled: 1-line block ×3, first 2 shown]
	ds_read_b64 v[120:121], v143 offset:11880
.LBB0_15:
	s_or_b64 exec, exec, s[4:5]
	s_and_saveexec_b64 s[4:5], vcc
	s_cbranch_execz .LBB0_18
; %bb.16:
	v_mul_u32_u24_e32 v100, 6, v115
	v_lshlrev_b32_e32 v104, 4, v100
	global_load_dwordx4 v[100:103], v104, s[8:9] offset:3472
	global_load_dwordx4 v[124:127], v104, s[8:9] offset:3456
	;; [unrolled: 1-line block ×6, first 2 shown]
	v_mov_b32_e32 v104, 0xfffffe86
	v_mad_u32_u24 v122, v115, 6, v104
	v_mov_b32_e32 v123, 0
	v_lshlrev_b64 v[104:105], 4, v[122:123]
	v_mov_b32_e32 v115, s9
	v_add_co_u32_e32 v104, vcc, s8, v104
	v_addc_co_u32_e32 v105, vcc, v115, v105, vcc
	global_load_dwordx4 v[147:150], v[104:105], off offset:3424
	global_load_dwordx4 v[152:155], v[104:105], off offset:3472
	;; [unrolled: 1-line block ×6, first 2 shown]
	s_mov_b32 s20, 0xe976ee23
	s_mov_b32 s21, 0xbfe11646
	;; [unrolled: 1-line block ×20, first 2 shown]
	v_mov_b32_e32 v115, v123
	s_movk_i32 s26, 0x4000
	s_waitcnt vmcnt(11) lgkmcnt(5)
	v_mul_f64 v[172:173], v[72:73], v[102:103]
	s_waitcnt vmcnt(10) lgkmcnt(2)
	v_mul_f64 v[174:175], v[94:95], v[126:127]
	s_waitcnt vmcnt(9)
	v_mul_f64 v[176:177], v[56:57], v[130:131]
	s_waitcnt vmcnt(8)
	v_mul_f64 v[104:105], v[112:113], v[134:135]
	s_waitcnt vmcnt(7) lgkmcnt(0)
	v_mul_f64 v[140:141], v[98:99], v[138:139]
	s_waitcnt vmcnt(6)
	v_mul_f64 v[178:179], v[108:109], v[145:146]
	v_mul_f64 v[138:139], v[96:97], v[138:139]
	;; [unrolled: 1-line block ×7, first 2 shown]
	v_fma_f64 v[86:87], v[86:87], v[132:133], -v[104:105]
	v_fma_f64 v[48:49], v[48:49], v[100:101], -v[172:173]
	;; [unrolled: 1-line block ×5, first 2 shown]
	v_fma_f64 v[98:99], v[98:99], v[136:137], v[138:139]
	v_fma_f64 v[104:105], v[112:113], v[132:133], v[134:135]
	;; [unrolled: 1-line block ×4, first 2 shown]
	v_fma_f64 v[96:97], v[96:97], v[136:137], -v[140:141]
	v_fma_f64 v[94:95], v[94:95], v[124:125], v[126:127]
	v_fma_f64 v[72:73], v[72:73], v[100:101], v[102:103]
	v_add_f64 v[102:103], v[48:49], -v[82:83]
	v_add_f64 v[126:127], v[44:45], -v[90:91]
	v_add_f64 v[128:129], v[104:105], v[98:99]
	v_add_f64 v[44:45], v[44:45], v[90:91]
	;; [unrolled: 1-line block ×3, first 2 shown]
	v_add_f64 v[100:101], v[86:87], -v[96:97]
	v_add_f64 v[86:87], v[86:87], v[96:97]
	v_add_f64 v[132:133], v[72:73], v[94:95]
	;; [unrolled: 1-line block ×3, first 2 shown]
	v_add_f64 v[82:83], v[104:105], -v[98:99]
	v_add_f64 v[72:73], v[72:73], -v[94:95]
	;; [unrolled: 1-line block ×3, first 2 shown]
	v_add_f64 v[96:97], v[102:103], v[126:127]
	v_add_f64 v[98:99], v[128:129], v[130:131]
	v_add_f64 v[56:57], v[56:57], -v[108:109]
	v_add_f64 v[104:105], v[132:133], -v[130:131]
	v_add_f64 v[108:109], v[86:87], v[44:45]
	v_add_f64 v[134:135], v[86:87], -v[48:49]
	v_add_f64 v[136:137], v[48:49], -v[44:45]
	;; [unrolled: 1-line block ×3, first 2 shown]
	v_mul_f64 v[86:87], v[94:95], s[20:21]
	v_add_f64 v[94:95], v[100:101], v[96:97]
	v_add_f64 v[96:97], v[132:133], v[98:99]
	v_add_f64 v[90:91], v[100:101], -v[102:103]
	v_add_f64 v[102:103], v[128:129], -v[132:133]
	;; [unrolled: 1-line block ×4, first 2 shown]
	v_add_f64 v[72:73], v[72:73], v[56:57]
	v_add_f64 v[126:127], v[126:127], -v[100:101]
	v_mul_f64 v[100:101], v[104:105], s[18:19]
	v_add_f64 v[48:49], v[48:49], v[108:109]
	v_add_f64 v[56:57], v[56:57], -v[82:83]
	v_add_f64 v[104:105], v[68:69], v[96:97]
	v_add_f64 v[128:129], v[130:131], -v[128:129]
	v_mul_f64 v[98:99], v[102:103], s[24:25]
	v_mul_f64 v[108:109], v[134:135], s[24:25]
	;; [unrolled: 1-line block ×3, first 2 shown]
	v_add_f64 v[72:73], v[82:83], v[72:73]
	v_mul_f64 v[82:83], v[126:127], s[14:15]
	v_fma_f64 v[68:69], v[102:103], s[24:25], v[100:101]
	v_add_f64 v[102:103], v[28:29], v[48:49]
	v_mul_f64 v[132:133], v[140:141], s[20:21]
	v_mul_f64 v[136:137], v[56:57], s[14:15]
	v_fma_f64 v[96:97], v[96:97], s[6:7], v[104:105]
	v_fma_f64 v[140:141], v[90:91], s[10:11], v[86:87]
	;; [unrolled: 1-line block ×3, first 2 shown]
	v_fma_f64 v[82:83], v[90:91], s[12:13], -v[82:83]
	v_fma_f64 v[90:91], v[128:129], s[16:17], -v[98:99]
	;; [unrolled: 1-line block ×4, first 2 shown]
	v_fma_f64 v[48:49], v[48:49], s[6:7], v[102:103]
	s_waitcnt vmcnt(2)
	v_mul_f64 v[186:187], v[66:67], v[162:163]
	v_fma_f64 v[134:135], v[138:139], s[10:11], v[132:133]
	v_fma_f64 v[108:109], v[138:139], s[12:13], -v[136:137]
	v_add_f64 v[138:139], v[68:69], v[96:97]
	v_mul_f64 v[68:69], v[84:85], v[149:150]
	v_fma_f64 v[56:57], v[56:57], s[14:15], -v[132:133]
	v_fma_f64 v[132:133], v[94:95], s[4:5], v[140:141]
	v_add_f64 v[28:29], v[28:29], v[48:49]
	v_add_f64 v[140:141], v[98:99], v[48:49]
	;; [unrolled: 1-line block ×3, first 2 shown]
	s_waitcnt vmcnt(0)
	v_mul_f64 v[44:45], v[78:79], v[170:171]
	v_mul_f64 v[180:181], v[110:111], v[149:150]
	;; [unrolled: 1-line block ×5, first 2 shown]
	v_fma_f64 v[145:146], v[34:35], v[160:161], -v[186:187]
	v_fma_f64 v[172:173], v[110:111], v[147:148], v[68:69]
	v_mul_f64 v[68:69], v[88:89], v[166:167]
	v_mul_f64 v[34:35], v[34:35], v[162:163]
	v_fma_f64 v[162:163], v[42:43], v[168:169], -v[44:45]
	v_mul_u32_u24_e32 v42, 6, v114
	v_lshlrev_b32_e32 v110, 4, v42
	v_fma_f64 v[100:101], v[128:129], s[22:23], -v[100:101]
	v_fma_f64 v[136:137], v[72:73], s[4:5], v[134:135]
	v_fma_f64 v[128:129], v[94:95], s[4:5], v[82:83]
	;; [unrolled: 1-line block ×3, first 2 shown]
	v_fma_f64 v[143:144], v[80:81], v[156:157], -v[184:185]
	v_fma_f64 v[149:150], v[88:89], v[164:165], -v[112:113]
	v_fma_f64 v[170:171], v[78:79], v[168:169], v[124:125]
	v_fma_f64 v[147:148], v[84:85], v[147:148], -v[180:181]
	v_fma_f64 v[164:165], v[106:107], v[164:165], v[68:69]
	v_fma_f64 v[34:35], v[66:67], v[160:161], v[34:35]
	v_mul_f64 v[124:125], v[80:81], v[158:159]
	global_load_dwordx4 v[42:45], v110, s[8:9] offset:3440
	global_load_dwordx4 v[66:69], v110, s[8:9] offset:3424
	;; [unrolled: 1-line block ×5, first 2 shown]
	v_mul_f64 v[182:183], v[62:63], v[154:155]
	global_load_dwordx4 v[110:113], v110, s[8:9] offset:3488
	v_fma_f64 v[86:87], v[126:127], s[14:15], -v[86:87]
	v_fma_f64 v[56:57], v[72:73], s[4:5], v[56:57]
	v_add_f64 v[126:127], v[100:101], v[96:97]
	v_add_f64 v[168:169], v[145:146], -v[149:150]
	v_add_f64 v[174:175], v[172:173], v[170:171]
	v_fma_f64 v[92:93], v[92:93], v[156:157], v[124:125]
	v_fma_f64 v[72:73], v[38:39], v[152:153], -v[182:183]
	v_mul_f64 v[38:39], v[38:39], v[154:155]
	v_fma_f64 v[86:87], v[94:95], s[4:5], v[86:87]
	v_add_f64 v[154:155], v[34:35], v[164:165]
	v_add_f64 v[145:146], v[145:146], v[149:150]
	v_add_f64 v[130:131], v[90:91], v[96:97]
	v_add_f64 v[88:89], v[56:57], v[48:49]
	v_add_f64 v[124:125], v[48:49], -v[56:57]
	v_add_f64 v[166:167], v[72:73], -v[143:144]
	v_fma_f64 v[38:39], v[62:63], v[152:153], v[38:39]
	v_add_f64 v[62:63], v[147:148], v[162:163]
	v_add_f64 v[90:91], v[126:127], -v[86:87]
	v_add_f64 v[126:127], v[86:87], v[126:127]
	v_add_f64 v[48:49], v[147:148], -v[162:163]
	v_add_f64 v[56:57], v[174:175], v[154:155]
	v_add_f64 v[72:73], v[72:73], v[143:144]
	v_add_f64 v[147:148], v[166:167], -v[168:169]
	v_add_f64 v[86:87], v[38:39], v[92:93]
	v_add_f64 v[149:150], v[62:63], v[145:146]
	v_add_f64 v[38:39], v[38:39], -v[92:93]
	v_add_f64 v[34:35], v[34:35], -v[164:165]
	v_add_f64 v[100:101], v[128:129], v[130:131]
	v_add_f64 v[98:99], v[140:141], -v[134:135]
	v_add_f64 v[130:131], v[130:131], -v[128:129]
	v_add_f64 v[128:129], v[134:135], v[140:141]
	v_add_f64 v[92:93], v[86:87], v[56:57]
	v_mul_f64 v[143:144], v[147:148], s[20:21]
	v_add_f64 v[134:135], v[86:87], -v[154:155]
	v_add_f64 v[147:148], v[72:73], v[149:150]
	v_add_f64 v[152:153], v[72:73], -v[145:146]
	v_add_f64 v[156:157], v[172:173], -v[170:171]
	;; [unrolled: 1-line block ×3, first 2 shown]
	v_add_f64 v[149:150], v[166:167], v[168:169]
	v_add_f64 v[56:57], v[54:55], v[92:93]
	v_add_f64 v[86:87], v[174:175], -v[86:87]
	v_mul_f64 v[160:161], v[134:135], s[18:19]
	v_add_f64 v[54:55], v[26:27], v[147:148]
	v_add_f64 v[26:27], v[62:63], -v[72:73]
	v_mul_f64 v[72:73], v[152:153], s[18:19]
	v_add_f64 v[152:153], v[156:157], -v[38:39]
	v_mul_f64 v[158:159], v[158:159], s[20:21]
	v_add_f64 v[38:39], v[38:39], v[34:35]
	v_add_f64 v[140:141], v[48:49], -v[166:167]
	v_add_f64 v[149:150], v[48:49], v[149:150]
	v_fma_f64 v[92:93], v[92:93], s[6:7], v[56:57]
	v_fma_f64 v[162:163], v[86:87], s[24:25], v[160:161]
	;; [unrolled: 1-line block ×5, first 2 shown]
	v_add_f64 v[38:39], v[156:157], v[38:39]
	v_add_f64 v[48:49], v[168:169], -v[48:49]
	v_add_f64 v[34:35], v[34:35], -v[156:157]
	v_fma_f64 v[134:135], v[140:141], s[10:11], v[143:144]
	v_mul_f64 v[86:87], v[86:87], s[24:25]
	v_add_f64 v[156:157], v[162:163], v[92:93]
	v_mul_f64 v[26:27], v[26:27], s[24:25]
	v_add_f64 v[162:163], v[164:165], v[147:148]
	v_fma_f64 v[164:165], v[38:39], s[4:5], v[166:167]
	v_mul_f64 v[166:167], v[48:49], s[14:15]
	v_add_f64 v[154:155], v[154:155], -v[174:175]
	v_add_f64 v[62:63], v[145:146], -v[62:63]
	v_mul_f64 v[145:146], v[34:35], s[14:15]
	v_add_f64 v[96:97], v[132:133], v[138:139]
	v_add_f64 v[94:95], v[28:29], -v[136:137]
	v_fma_f64 v[168:169], v[149:150], s[4:5], v[134:135]
	v_add_f64 v[134:135], v[138:139], -v[132:133]
	v_add_f64 v[132:133], v[136:137], v[28:29]
	v_fma_f64 v[28:29], v[140:141], s[12:13], -v[166:167]
	v_fma_f64 v[86:87], v[154:155], s[16:17], -v[86:87]
	;; [unrolled: 1-line block ×8, first 2 shown]
	v_fma_f64 v[28:29], v[149:150], s[4:5], v[28:29]
	v_add_f64 v[72:73], v[86:87], v[92:93]
	v_add_f64 v[26:27], v[26:27], v[147:148]
	s_waitcnt vmcnt(2)
	v_mul_f64 v[143:144], v[60:61], v[84:85]
	v_add_f64 v[92:93], v[145:146], v[92:93]
	v_fma_f64 v[48:49], v[149:150], s[4:5], v[48:49]
	v_add_f64 v[62:63], v[62:63], v[147:148]
	s_waitcnt vmcnt(1)
	v_mul_f64 v[145:146], v[58:59], v[108:109]
	v_mul_f64 v[147:148], v[64:65], v[44:45]
	s_waitcnt vmcnt(0)
	v_mul_f64 v[149:150], v[74:75], v[112:113]
	v_fma_f64 v[86:87], v[38:39], s[4:5], v[140:141]
	v_fma_f64 v[140:141], v[38:39], s[4:5], v[34:35]
	v_mul_f64 v[34:35], v[70:71], v[68:69]
	v_mul_f64 v[38:39], v[76:77], v[80:81]
	;; [unrolled: 1-line block ×6, first 2 shown]
	v_fma_f64 v[143:144], v[36:37], v[82:83], -v[143:144]
	v_fma_f64 v[145:146], v[46:47], v[106:107], -v[145:146]
	;; [unrolled: 1-line block ×4, first 2 shown]
	v_fma_f64 v[76:77], v[76:77], v[78:79], v[80:81]
	v_fma_f64 v[68:69], v[70:71], v[66:67], v[68:69]
	;; [unrolled: 1-line block ×4, first 2 shown]
	v_mul_f64 v[32:33], v[46:47], v[108:109]
	v_mul_f64 v[36:37], v[36:37], v[84:85]
	v_fma_f64 v[30:31], v[30:31], v[66:67], -v[34:35]
	v_fma_f64 v[40:41], v[40:41], v[78:79], -v[38:39]
	v_add_f64 v[66:67], v[143:144], -v[145:146]
	v_add_f64 v[74:75], v[147:148], -v[50:51]
	v_add_f64 v[78:79], v[68:69], v[76:77]
	v_add_f64 v[80:81], v[64:65], v[70:71]
	v_fma_f64 v[58:59], v[58:59], v[106:107], v[32:33]
	v_fma_f64 v[60:61], v[60:61], v[82:83], v[36:37]
	v_add_f64 v[50:51], v[147:148], v[50:51]
	v_add_f64 v[82:83], v[30:31], -v[40:41]
	v_add_f64 v[30:31], v[30:31], v[40:41]
	v_add_f64 v[44:45], v[66:67], -v[74:75]
	;; [unrolled: 2-line block ×3, first 2 shown]
	v_add_f64 v[38:39], v[92:93], -v[48:49]
	v_add_f64 v[84:85], v[78:79], v[80:81]
	v_add_f64 v[106:107], v[60:61], v[58:59]
	;; [unrolled: 1-line block ×3, first 2 shown]
	v_add_f64 v[46:47], v[72:73], -v[28:29]
	v_mul_f64 v[92:93], v[44:45], s[20:21]
	v_add_f64 v[44:45], v[86:87], v[26:27]
	v_add_f64 v[26:27], v[30:31], v[50:51]
	;; [unrolled: 1-line block ×4, first 2 shown]
	v_add_f64 v[40:41], v[62:63], -v[140:141]
	v_add_f64 v[62:63], v[106:107], v[84:85]
	v_add_f64 v[58:59], v[60:61], -v[58:59]
	v_add_f64 v[60:61], v[64:65], -v[70:71]
	;; [unrolled: 1-line block ×4, first 2 shown]
	v_add_f64 v[70:71], v[72:73], v[26:27]
	v_add_f64 v[86:87], v[72:73], -v[50:51]
	v_add_f64 v[66:67], v[66:67], v[74:75]
	v_add_f64 v[28:29], v[52:53], v[62:63]
	v_add_f64 v[52:53], v[78:79], -v[106:107]
	v_add_f64 v[64:65], v[106:107], -v[80:81]
	;; [unrolled: 1-line block ×4, first 2 shown]
	v_add_f64 v[26:27], v[24:25], v[70:71]
	v_add_f64 v[24:25], v[30:31], -v[72:73]
	v_mul_f64 v[72:73], v[86:87], s[18:19]
	v_add_f64 v[86:87], v[68:69], -v[58:59]
	v_add_f64 v[58:59], v[58:59], v[60:61]
	v_add_f64 v[60:61], v[60:61], -v[68:69]
	v_mul_f64 v[106:107], v[52:53], s[24:25]
	v_mul_f64 v[64:65], v[64:65], s[18:19]
	v_mul_f64 v[76:77], v[76:77], s[20:21]
	v_add_f64 v[78:79], v[80:81], -v[78:79]
	v_add_f64 v[66:67], v[82:83], v[66:67]
	v_mul_f64 v[82:83], v[24:25], s[24:25]
	v_add_f64 v[58:59], v[68:69], v[58:59]
	v_mul_f64 v[68:69], v[74:75], s[14:15]
	v_add_f64 v[30:31], v[50:51], -v[30:31]
	v_mul_f64 v[50:51], v[60:61], s[14:15]
	v_fma_f64 v[84:85], v[48:49], s[10:11], v[92:93]
	v_fma_f64 v[62:63], v[62:63], s[6:7], v[28:29]
	;; [unrolled: 1-line block ×6, first 2 shown]
	v_fma_f64 v[48:49], v[48:49], s[12:13], -v[68:69]
	v_fma_f64 v[68:69], v[78:79], s[16:17], -v[106:107]
	;; [unrolled: 1-line block ×6, first 2 shown]
	v_fma_f64 v[80:81], v[66:67], s[4:5], v[84:85]
	v_add_f64 v[52:53], v[52:53], v[62:63]
	v_add_f64 v[24:25], v[24:25], v[70:71]
	v_fma_f64 v[84:85], v[58:59], s[4:5], v[108:109]
	v_fma_f64 v[64:65], v[78:79], s[22:23], -v[64:65]
	v_fma_f64 v[76:77], v[66:67], s[4:5], v[48:49]
	v_add_f64 v[78:79], v[68:69], v[62:63]
	v_fma_f64 v[74:75], v[74:75], s[14:15], -v[92:93]
	v_add_f64 v[82:83], v[82:83], v[70:71]
	v_add_f64 v[30:31], v[30:31], v[70:71]
	v_fma_f64 v[70:71], v[58:59], s[4:5], v[60:61]
	v_fma_f64 v[86:87], v[58:59], s[4:5], v[50:51]
	v_add_f64 v[72:73], v[64:65], v[62:63]
	v_add_f64 v[60:61], v[80:81], v[52:53]
	;; [unrolled: 1-line block ×3, first 2 shown]
	v_add_f64 v[76:77], v[78:79], -v[76:77]
	v_add_f64 v[80:81], v[52:53], -v[80:81]
	v_add_f64 v[78:79], v[84:85], v[24:25]
	v_fma_f64 v[74:75], v[66:67], s[4:5], v[74:75]
	v_add_f64 v[58:59], v[24:25], -v[84:85]
	v_add_f64 v[66:67], v[70:71], v[30:31]
	v_add_f64 v[70:71], v[30:31], -v[70:71]
	v_mov_b32_e32 v24, s3
	v_add_co_u32_e32 v30, vcc, s2, v116
	v_addc_co_u32_e32 v31, vcc, v24, v117, vcc
	v_lshlrev_b64 v[24:25], 4, v[114:115]
	s_movk_i32 s2, 0x1000
	v_add_co_u32_e32 v24, vcc, v30, v24
	v_addc_co_u32_e32 v25, vcc, v31, v25, vcc
	v_add_f64 v[62:63], v[82:83], -v[86:87]
	global_store_dwordx4 v[24:25], v[26:29], off
	global_store_dwordx4 v[24:25], v[78:81], off offset:3456
	v_add_co_u32_e32 v26, vcc, s2, v24
	v_addc_co_u32_e32 v27, vcc, 0, v25, vcc
	s_movk_i32 s2, 0x2000
	v_add_f64 v[68:69], v[72:73], -v[74:75]
	v_add_f64 v[72:73], v[74:75], v[72:73]
	v_add_f64 v[74:75], v[86:87], v[82:83]
	v_add_co_u32_e32 v28, vcc, s2, v24
	v_addc_co_u32_e32 v29, vcc, 0, v25, vcc
	s_movk_i32 s3, 0x3000
	v_add_f64 v[50:51], v[156:157], -v[168:169]
	v_add_f64 v[48:49], v[164:165], v[162:163]
	v_add_co_u32_e32 v30, vcc, s3, v24
	v_addc_co_u32_e32 v31, vcc, 0, v25, vcc
	v_add_co_u32_e32 v52, vcc, s26, v24
	v_addc_co_u32_e32 v53, vcc, 0, v25, vcc
	s_movk_i32 s26, 0x5000
	global_store_dwordx4 v[52:53], v[62:65], off offset:896
	v_add_f64 v[138:139], v[168:169], v[156:157]
	v_add_co_u32_e32 v62, vcc, s26, v24
	v_add_f64 v[136:137], v[162:163], -v[164:165]
	v_addc_co_u32_e32 v63, vcc, 0, v25, vcc
	s_mov_b32 s26, 0x97b425f
	global_store_dwordx4 v[26:27], v[74:77], off offset:2816
	global_store_dwordx4 v[28:29], v[70:73], off offset:2176
	;; [unrolled: 1-line block ×11, first 2 shown]
	v_mul_hi_u32 v40, v151, s26
	s_movk_i32 s26, 0x7e0
	v_mul_u32_u24_e32 v122, 0x510, v40
	v_lshlrev_b64 v[32:33], 4, v[122:123]
	v_add_co_u32_e32 v32, vcc, v24, v32
	v_addc_co_u32_e32 v33, vcc, v25, v33, vcc
	v_add_co_u32_e32 v34, vcc, s26, v32
	v_addc_co_u32_e32 v35, vcc, 0, v33, vcc
	global_store_dwordx4 v[32:33], v[102:105], off offset:2016
	global_store_dwordx4 v[34:35], v[132:135], off offset:3456
	v_add_co_u32_e32 v34, vcc, s2, v32
	v_addc_co_u32_e32 v35, vcc, 0, v33, vcc
	global_store_dwordx4 v[34:35], v[128:131], off offset:736
	v_add_co_u32_e32 v34, vcc, s3, v32
	v_addc_co_u32_e32 v35, vcc, 0, v33, vcc
	global_store_dwordx4 v[34:35], v[124:127], off offset:96
	global_store_dwordx4 v[34:35], v[88:91], off offset:3552
	v_add_co_u32_e32 v34, vcc, 0x4000, v32
	v_addc_co_u32_e32 v35, vcc, 0, v33, vcc
	v_add_co_u32_e32 v32, vcc, 0x5000, v32
	v_addc_co_u32_e32 v33, vcc, 0, v33, vcc
	global_store_dwordx4 v[34:35], v[98:101], off offset:2912
	global_store_dwordx4 v[32:33], v[94:97], off offset:2272
	s_and_b64 exec, exec, s[0:1]
	s_cbranch_execz .LBB0_18
; %bb.17:
	v_subrev_u32_e32 v32, 27, v114
	v_cndmask_b32_e64 v32, v32, v142, s[0:1]
	v_mul_i32_i24_e32 v122, 6, v32
	v_lshlrev_b64 v[32:33], 4, v[122:123]
	v_mov_b32_e32 v34, s9
	v_add_co_u32_e32 v56, vcc, s8, v32
	v_addc_co_u32_e32 v57, vcc, v34, v33, vcc
	global_load_dwordx4 v[32:35], v[56:57], off offset:3424
	global_load_dwordx4 v[36:39], v[56:57], off offset:3440
	;; [unrolled: 1-line block ×6, first 2 shown]
	v_add_co_u32_e32 v56, vcc, 0x4000, v24
	v_addc_co_u32_e32 v57, vcc, 0, v25, vcc
	s_waitcnt vmcnt(5)
	v_mul_f64 v[58:59], v[14:15], v[34:35]
	v_mul_f64 v[34:35], v[2:3], v[34:35]
	s_waitcnt vmcnt(4)
	v_mul_f64 v[60:61], v[16:17], v[38:39]
	v_mul_f64 v[38:39], v[4:5], v[38:39]
	;; [unrolled: 3-line block ×4, first 2 shown]
	v_mul_f64 v[62:63], v[18:19], v[42:43]
	v_mul_f64 v[42:43], v[6:7], v[42:43]
	;; [unrolled: 1-line block ×4, first 2 shown]
	v_fma_f64 v[2:3], v[2:3], v[32:33], -v[58:59]
	v_fma_f64 v[14:15], v[14:15], v[32:33], v[34:35]
	v_fma_f64 v[4:5], v[4:5], v[36:37], -v[60:61]
	v_fma_f64 v[16:17], v[16:17], v[36:37], v[38:39]
	;; [unrolled: 2-line block ×6, first 2 shown]
	v_add_f64 v[36:37], v[2:3], v[32:33]
	v_add_f64 v[38:39], v[14:15], v[34:35]
	v_add_f64 v[2:3], v[2:3], -v[32:33]
	v_add_f64 v[14:15], v[14:15], -v[34:35]
	v_add_f64 v[32:33], v[4:5], v[10:11]
	v_add_f64 v[34:35], v[16:17], v[22:23]
	v_add_f64 v[4:5], v[4:5], -v[10:11]
	v_add_f64 v[10:11], v[16:17], -v[22:23]
	;; [unrolled: 4-line block ×4, first 2 shown]
	v_add_f64 v[36:37], v[36:37], -v[16:17]
	v_add_f64 v[38:39], v[38:39], -v[22:23]
	;; [unrolled: 1-line block ×4, first 2 shown]
	v_add_f64 v[44:45], v[6:7], v[4:5]
	v_add_f64 v[46:47], v[8:9], v[10:11]
	v_add_f64 v[48:49], v[6:7], -v[4:5]
	v_add_f64 v[50:51], v[8:9], -v[10:11]
	v_add_f64 v[16:17], v[16:17], v[18:19]
	v_add_f64 v[18:19], v[22:23], v[20:21]
	v_add_f64 v[4:5], v[4:5], -v[2:3]
	v_add_f64 v[10:11], v[10:11], -v[14:15]
	;; [unrolled: 1-line block ×4, first 2 shown]
	v_add_f64 v[20:21], v[44:45], v[2:3]
	v_add_f64 v[14:15], v[46:47], v[14:15]
	v_mul_f64 v[22:23], v[36:37], s[24:25]
	v_mul_f64 v[36:37], v[38:39], s[24:25]
	v_mul_f64 v[38:39], v[32:33], s[18:19]
	v_mul_f64 v[44:45], v[34:35], s[18:19]
	v_mul_f64 v[46:47], v[48:49], s[20:21]
	v_mul_f64 v[48:49], v[50:51], s[20:21]
	v_add_f64 v[0:1], v[0:1], v[16:17]
	v_add_f64 v[2:3], v[12:13], v[18:19]
	v_mul_f64 v[50:51], v[4:5], s[14:15]
	v_mul_f64 v[52:53], v[10:11], s[14:15]
	v_fma_f64 v[12:13], v[32:33], s[18:19], v[22:23]
	v_fma_f64 v[32:33], v[34:35], s[18:19], v[36:37]
	v_fma_f64 v[34:35], v[40:41], s[22:23], -v[38:39]
	v_fma_f64 v[38:39], v[42:43], s[22:23], -v[44:45]
	;; [unrolled: 1-line block ×4, first 2 shown]
	v_fma_f64 v[40:41], v[6:7], s[10:11], v[46:47]
	v_fma_f64 v[42:43], v[8:9], s[10:11], v[48:49]
	;; [unrolled: 1-line block ×4, first 2 shown]
	v_fma_f64 v[4:5], v[4:5], s[14:15], -v[46:47]
	v_fma_f64 v[6:7], v[6:7], s[12:13], -v[50:51]
	;; [unrolled: 1-line block ×4, first 2 shown]
	v_fma_f64 v[40:41], v[20:21], s[4:5], v[40:41]
	v_fma_f64 v[42:43], v[14:15], s[4:5], v[42:43]
	v_add_f64 v[50:51], v[12:13], v[16:17]
	v_add_f64 v[52:53], v[32:33], v[18:19]
	v_fma_f64 v[44:45], v[20:21], s[4:5], v[4:5]
	v_fma_f64 v[48:49], v[20:21], s[4:5], v[6:7]
	;; [unrolled: 1-line block ×3, first 2 shown]
	v_add_f64 v[22:23], v[22:23], v[16:17]
	v_add_f64 v[32:33], v[36:37], v[18:19]
	v_fma_f64 v[46:47], v[14:15], s[4:5], v[10:11]
	v_add_f64 v[16:17], v[34:35], v[16:17]
	v_add_f64 v[18:19], v[38:39], v[18:19]
	;; [unrolled: 1-line block ×3, first 2 shown]
	v_add_f64 v[6:7], v[52:53], -v[40:41]
	v_add_f64 v[34:35], v[40:41], v[52:53]
	v_add_f64 v[8:9], v[20:21], v[22:23]
	v_add_f64 v[10:11], v[32:33], -v[48:49]
	v_add_f64 v[20:21], v[22:23], -v[20:21]
	;; [unrolled: 1-line block ×3, first 2 shown]
	v_add_f64 v[14:15], v[44:45], v[18:19]
	v_add_f64 v[16:17], v[46:47], v[16:17]
	v_add_f64 v[18:19], v[18:19], -v[44:45]
	v_add_f64 v[22:23], v[48:49], v[32:33]
	v_add_f64 v[32:33], v[50:51], -v[42:43]
	v_add_co_u32_e32 v36, vcc, 0x5000, v24
	v_addc_co_u32_e32 v37, vcc, 0, v25, vcc
	global_store_dwordx4 v[24:25], v[0:3], off offset:3024
	global_store_dwordx4 v[26:27], v[4:7], off offset:2384
	;; [unrolled: 1-line block ×7, first 2 shown]
.LBB0_18:
	s_endpgm
	.section	.rodata,"a",@progbits
	.p2align	6, 0x0
	.amdhsa_kernel fft_rtc_fwd_len1512_factors_2_2_2_3_3_3_7_wgs_63_tpt_63_halfLds_dp_ip_CI_unitstride_sbrr_dirReg
		.amdhsa_group_segment_fixed_size 0
		.amdhsa_private_segment_fixed_size 0
		.amdhsa_kernarg_size 88
		.amdhsa_user_sgpr_count 6
		.amdhsa_user_sgpr_private_segment_buffer 1
		.amdhsa_user_sgpr_dispatch_ptr 0
		.amdhsa_user_sgpr_queue_ptr 0
		.amdhsa_user_sgpr_kernarg_segment_ptr 1
		.amdhsa_user_sgpr_dispatch_id 0
		.amdhsa_user_sgpr_flat_scratch_init 0
		.amdhsa_user_sgpr_private_segment_size 0
		.amdhsa_uses_dynamic_stack 0
		.amdhsa_system_sgpr_private_segment_wavefront_offset 0
		.amdhsa_system_sgpr_workgroup_id_x 1
		.amdhsa_system_sgpr_workgroup_id_y 0
		.amdhsa_system_sgpr_workgroup_id_z 0
		.amdhsa_system_sgpr_workgroup_info 0
		.amdhsa_system_vgpr_workitem_id 0
		.amdhsa_next_free_vgpr 188
		.amdhsa_next_free_sgpr 27
		.amdhsa_reserve_vcc 1
		.amdhsa_reserve_flat_scratch 0
		.amdhsa_float_round_mode_32 0
		.amdhsa_float_round_mode_16_64 0
		.amdhsa_float_denorm_mode_32 3
		.amdhsa_float_denorm_mode_16_64 3
		.amdhsa_dx10_clamp 1
		.amdhsa_ieee_mode 1
		.amdhsa_fp16_overflow 0
		.amdhsa_exception_fp_ieee_invalid_op 0
		.amdhsa_exception_fp_denorm_src 0
		.amdhsa_exception_fp_ieee_div_zero 0
		.amdhsa_exception_fp_ieee_overflow 0
		.amdhsa_exception_fp_ieee_underflow 0
		.amdhsa_exception_fp_ieee_inexact 0
		.amdhsa_exception_int_div_zero 0
	.end_amdhsa_kernel
	.text
.Lfunc_end0:
	.size	fft_rtc_fwd_len1512_factors_2_2_2_3_3_3_7_wgs_63_tpt_63_halfLds_dp_ip_CI_unitstride_sbrr_dirReg, .Lfunc_end0-fft_rtc_fwd_len1512_factors_2_2_2_3_3_3_7_wgs_63_tpt_63_halfLds_dp_ip_CI_unitstride_sbrr_dirReg
                                        ; -- End function
	.section	.AMDGPU.csdata,"",@progbits
; Kernel info:
; codeLenInByte = 17516
; NumSgprs: 31
; NumVgprs: 188
; ScratchSize: 0
; MemoryBound: 1
; FloatMode: 240
; IeeeMode: 1
; LDSByteSize: 0 bytes/workgroup (compile time only)
; SGPRBlocks: 3
; VGPRBlocks: 46
; NumSGPRsForWavesPerEU: 31
; NumVGPRsForWavesPerEU: 188
; Occupancy: 1
; WaveLimiterHint : 1
; COMPUTE_PGM_RSRC2:SCRATCH_EN: 0
; COMPUTE_PGM_RSRC2:USER_SGPR: 6
; COMPUTE_PGM_RSRC2:TRAP_HANDLER: 0
; COMPUTE_PGM_RSRC2:TGID_X_EN: 1
; COMPUTE_PGM_RSRC2:TGID_Y_EN: 0
; COMPUTE_PGM_RSRC2:TGID_Z_EN: 0
; COMPUTE_PGM_RSRC2:TIDIG_COMP_CNT: 0
	.type	__hip_cuid_1c24ad301e7df918,@object ; @__hip_cuid_1c24ad301e7df918
	.section	.bss,"aw",@nobits
	.globl	__hip_cuid_1c24ad301e7df918
__hip_cuid_1c24ad301e7df918:
	.byte	0                               ; 0x0
	.size	__hip_cuid_1c24ad301e7df918, 1

	.ident	"AMD clang version 19.0.0git (https://github.com/RadeonOpenCompute/llvm-project roc-6.4.0 25133 c7fe45cf4b819c5991fe208aaa96edf142730f1d)"
	.section	".note.GNU-stack","",@progbits
	.addrsig
	.addrsig_sym __hip_cuid_1c24ad301e7df918
	.amdgpu_metadata
---
amdhsa.kernels:
  - .args:
      - .actual_access:  read_only
        .address_space:  global
        .offset:         0
        .size:           8
        .value_kind:     global_buffer
      - .offset:         8
        .size:           8
        .value_kind:     by_value
      - .actual_access:  read_only
        .address_space:  global
        .offset:         16
        .size:           8
        .value_kind:     global_buffer
      - .actual_access:  read_only
        .address_space:  global
        .offset:         24
        .size:           8
        .value_kind:     global_buffer
      - .offset:         32
        .size:           8
        .value_kind:     by_value
      - .actual_access:  read_only
        .address_space:  global
        .offset:         40
        .size:           8
        .value_kind:     global_buffer
      - .actual_access:  read_only
        .address_space:  global
        .offset:         48
        .size:           8
        .value_kind:     global_buffer
      - .offset:         56
        .size:           4
        .value_kind:     by_value
      - .actual_access:  read_only
        .address_space:  global
        .offset:         64
        .size:           8
        .value_kind:     global_buffer
      - .actual_access:  read_only
        .address_space:  global
        .offset:         72
        .size:           8
        .value_kind:     global_buffer
      - .address_space:  global
        .offset:         80
        .size:           8
        .value_kind:     global_buffer
    .group_segment_fixed_size: 0
    .kernarg_segment_align: 8
    .kernarg_segment_size: 88
    .language:       OpenCL C
    .language_version:
      - 2
      - 0
    .max_flat_workgroup_size: 63
    .name:           fft_rtc_fwd_len1512_factors_2_2_2_3_3_3_7_wgs_63_tpt_63_halfLds_dp_ip_CI_unitstride_sbrr_dirReg
    .private_segment_fixed_size: 0
    .sgpr_count:     31
    .sgpr_spill_count: 0
    .symbol:         fft_rtc_fwd_len1512_factors_2_2_2_3_3_3_7_wgs_63_tpt_63_halfLds_dp_ip_CI_unitstride_sbrr_dirReg.kd
    .uniform_work_group_size: 1
    .uses_dynamic_stack: false
    .vgpr_count:     188
    .vgpr_spill_count: 0
    .wavefront_size: 64
amdhsa.target:   amdgcn-amd-amdhsa--gfx906
amdhsa.version:
  - 1
  - 2
...

	.end_amdgpu_metadata
